;; amdgpu-corpus repo=ROCm/rocPRIM kind=compiled arch=gfx90a opt=O3
	.text
	.amdgcn_target "amdgcn-amd-amdhsa--gfx90a"
	.amdhsa_code_object_version 6
	.section	.text._Z16warp_load_kernelILj1024ELj4ELj1ELN7rocprim17ROCPRIM_304000_NS16warp_load_methodE3E12hip_bfloat16EvPT3_S5_,"axG",@progbits,_Z16warp_load_kernelILj1024ELj4ELj1ELN7rocprim17ROCPRIM_304000_NS16warp_load_methodE3E12hip_bfloat16EvPT3_S5_,comdat
	.protected	_Z16warp_load_kernelILj1024ELj4ELj1ELN7rocprim17ROCPRIM_304000_NS16warp_load_methodE3E12hip_bfloat16EvPT3_S5_ ; -- Begin function _Z16warp_load_kernelILj1024ELj4ELj1ELN7rocprim17ROCPRIM_304000_NS16warp_load_methodE3E12hip_bfloat16EvPT3_S5_
	.globl	_Z16warp_load_kernelILj1024ELj4ELj1ELN7rocprim17ROCPRIM_304000_NS16warp_load_methodE3E12hip_bfloat16EvPT3_S5_
	.p2align	8
	.type	_Z16warp_load_kernelILj1024ELj4ELj1ELN7rocprim17ROCPRIM_304000_NS16warp_load_methodE3E12hip_bfloat16EvPT3_S5_,@function
_Z16warp_load_kernelILj1024ELj4ELj1ELN7rocprim17ROCPRIM_304000_NS16warp_load_methodE3E12hip_bfloat16EvPT3_S5_: ; @_Z16warp_load_kernelILj1024ELj4ELj1ELN7rocprim17ROCPRIM_304000_NS16warp_load_methodE3E12hip_bfloat16EvPT3_S5_
; %bb.0:
	s_load_dwordx4 s[0:3], s[4:5], 0x0
	v_lshlrev_b32_e32 v2, 3, v0
	s_waitcnt lgkmcnt(0)
	global_load_dwordx2 v[0:1], v2, s[0:1]
	s_waitcnt vmcnt(0)
	ds_write_b64 v2, v[0:1]
	; wave barrier
	ds_read_b64 v[0:1], v2
	s_waitcnt lgkmcnt(0)
	global_store_dwordx2 v2, v[0:1], s[2:3]
	s_endpgm
	.section	.rodata,"a",@progbits
	.p2align	6, 0x0
	.amdhsa_kernel _Z16warp_load_kernelILj1024ELj4ELj1ELN7rocprim17ROCPRIM_304000_NS16warp_load_methodE3E12hip_bfloat16EvPT3_S5_
		.amdhsa_group_segment_fixed_size 8192
		.amdhsa_private_segment_fixed_size 0
		.amdhsa_kernarg_size 16
		.amdhsa_user_sgpr_count 6
		.amdhsa_user_sgpr_private_segment_buffer 1
		.amdhsa_user_sgpr_dispatch_ptr 0
		.amdhsa_user_sgpr_queue_ptr 0
		.amdhsa_user_sgpr_kernarg_segment_ptr 1
		.amdhsa_user_sgpr_dispatch_id 0
		.amdhsa_user_sgpr_flat_scratch_init 0
		.amdhsa_user_sgpr_kernarg_preload_length 0
		.amdhsa_user_sgpr_kernarg_preload_offset 0
		.amdhsa_user_sgpr_private_segment_size 0
		.amdhsa_uses_dynamic_stack 0
		.amdhsa_system_sgpr_private_segment_wavefront_offset 0
		.amdhsa_system_sgpr_workgroup_id_x 1
		.amdhsa_system_sgpr_workgroup_id_y 0
		.amdhsa_system_sgpr_workgroup_id_z 0
		.amdhsa_system_sgpr_workgroup_info 0
		.amdhsa_system_vgpr_workitem_id 0
		.amdhsa_next_free_vgpr 3
		.amdhsa_next_free_sgpr 6
		.amdhsa_accum_offset 4
		.amdhsa_reserve_vcc 0
		.amdhsa_reserve_flat_scratch 0
		.amdhsa_float_round_mode_32 0
		.amdhsa_float_round_mode_16_64 0
		.amdhsa_float_denorm_mode_32 3
		.amdhsa_float_denorm_mode_16_64 3
		.amdhsa_dx10_clamp 1
		.amdhsa_ieee_mode 1
		.amdhsa_fp16_overflow 0
		.amdhsa_tg_split 0
		.amdhsa_exception_fp_ieee_invalid_op 0
		.amdhsa_exception_fp_denorm_src 0
		.amdhsa_exception_fp_ieee_div_zero 0
		.amdhsa_exception_fp_ieee_overflow 0
		.amdhsa_exception_fp_ieee_underflow 0
		.amdhsa_exception_fp_ieee_inexact 0
		.amdhsa_exception_int_div_zero 0
	.end_amdhsa_kernel
	.section	.text._Z16warp_load_kernelILj1024ELj4ELj1ELN7rocprim17ROCPRIM_304000_NS16warp_load_methodE3E12hip_bfloat16EvPT3_S5_,"axG",@progbits,_Z16warp_load_kernelILj1024ELj4ELj1ELN7rocprim17ROCPRIM_304000_NS16warp_load_methodE3E12hip_bfloat16EvPT3_S5_,comdat
.Lfunc_end0:
	.size	_Z16warp_load_kernelILj1024ELj4ELj1ELN7rocprim17ROCPRIM_304000_NS16warp_load_methodE3E12hip_bfloat16EvPT3_S5_, .Lfunc_end0-_Z16warp_load_kernelILj1024ELj4ELj1ELN7rocprim17ROCPRIM_304000_NS16warp_load_methodE3E12hip_bfloat16EvPT3_S5_
                                        ; -- End function
	.section	.AMDGPU.csdata,"",@progbits
; Kernel info:
; codeLenInByte = 60
; NumSgprs: 10
; NumVgprs: 3
; NumAgprs: 0
; TotalNumVgprs: 3
; ScratchSize: 0
; MemoryBound: 0
; FloatMode: 240
; IeeeMode: 1
; LDSByteSize: 8192 bytes/workgroup (compile time only)
; SGPRBlocks: 1
; VGPRBlocks: 0
; NumSGPRsForWavesPerEU: 10
; NumVGPRsForWavesPerEU: 3
; AccumOffset: 4
; Occupancy: 8
; WaveLimiterHint : 0
; COMPUTE_PGM_RSRC2:SCRATCH_EN: 0
; COMPUTE_PGM_RSRC2:USER_SGPR: 6
; COMPUTE_PGM_RSRC2:TRAP_HANDLER: 0
; COMPUTE_PGM_RSRC2:TGID_X_EN: 1
; COMPUTE_PGM_RSRC2:TGID_Y_EN: 0
; COMPUTE_PGM_RSRC2:TGID_Z_EN: 0
; COMPUTE_PGM_RSRC2:TIDIG_COMP_CNT: 0
; COMPUTE_PGM_RSRC3_GFX90A:ACCUM_OFFSET: 0
; COMPUTE_PGM_RSRC3_GFX90A:TG_SPLIT: 0
	.section	.text._Z16warp_load_kernelILj1024ELj4ELj1ELN7rocprim17ROCPRIM_304000_NS16warp_load_methodE2E12hip_bfloat16EvPT3_S5_,"axG",@progbits,_Z16warp_load_kernelILj1024ELj4ELj1ELN7rocprim17ROCPRIM_304000_NS16warp_load_methodE2E12hip_bfloat16EvPT3_S5_,comdat
	.protected	_Z16warp_load_kernelILj1024ELj4ELj1ELN7rocprim17ROCPRIM_304000_NS16warp_load_methodE2E12hip_bfloat16EvPT3_S5_ ; -- Begin function _Z16warp_load_kernelILj1024ELj4ELj1ELN7rocprim17ROCPRIM_304000_NS16warp_load_methodE2E12hip_bfloat16EvPT3_S5_
	.globl	_Z16warp_load_kernelILj1024ELj4ELj1ELN7rocprim17ROCPRIM_304000_NS16warp_load_methodE2E12hip_bfloat16EvPT3_S5_
	.p2align	8
	.type	_Z16warp_load_kernelILj1024ELj4ELj1ELN7rocprim17ROCPRIM_304000_NS16warp_load_methodE2E12hip_bfloat16EvPT3_S5_,@function
_Z16warp_load_kernelILj1024ELj4ELj1ELN7rocprim17ROCPRIM_304000_NS16warp_load_methodE2E12hip_bfloat16EvPT3_S5_: ; @_Z16warp_load_kernelILj1024ELj4ELj1ELN7rocprim17ROCPRIM_304000_NS16warp_load_methodE2E12hip_bfloat16EvPT3_S5_
; %bb.0:
	s_load_dwordx4 s[0:3], s[4:5], 0x0
	v_lshlrev_b32_e32 v2, 3, v0
	s_waitcnt lgkmcnt(0)
	global_load_dwordx2 v[0:1], v2, s[0:1]
	s_mov_b32 s0, 0xffff
	s_waitcnt vmcnt(0)
	v_bfi_b32 v0, s0, v0, v0
	global_store_dwordx2 v2, v[0:1], s[2:3]
	s_endpgm
	.section	.rodata,"a",@progbits
	.p2align	6, 0x0
	.amdhsa_kernel _Z16warp_load_kernelILj1024ELj4ELj1ELN7rocprim17ROCPRIM_304000_NS16warp_load_methodE2E12hip_bfloat16EvPT3_S5_
		.amdhsa_group_segment_fixed_size 0
		.amdhsa_private_segment_fixed_size 0
		.amdhsa_kernarg_size 16
		.amdhsa_user_sgpr_count 6
		.amdhsa_user_sgpr_private_segment_buffer 1
		.amdhsa_user_sgpr_dispatch_ptr 0
		.amdhsa_user_sgpr_queue_ptr 0
		.amdhsa_user_sgpr_kernarg_segment_ptr 1
		.amdhsa_user_sgpr_dispatch_id 0
		.amdhsa_user_sgpr_flat_scratch_init 0
		.amdhsa_user_sgpr_kernarg_preload_length 0
		.amdhsa_user_sgpr_kernarg_preload_offset 0
		.amdhsa_user_sgpr_private_segment_size 0
		.amdhsa_uses_dynamic_stack 0
		.amdhsa_system_sgpr_private_segment_wavefront_offset 0
		.amdhsa_system_sgpr_workgroup_id_x 1
		.amdhsa_system_sgpr_workgroup_id_y 0
		.amdhsa_system_sgpr_workgroup_id_z 0
		.amdhsa_system_sgpr_workgroup_info 0
		.amdhsa_system_vgpr_workitem_id 0
		.amdhsa_next_free_vgpr 3
		.amdhsa_next_free_sgpr 6
		.amdhsa_accum_offset 4
		.amdhsa_reserve_vcc 0
		.amdhsa_reserve_flat_scratch 0
		.amdhsa_float_round_mode_32 0
		.amdhsa_float_round_mode_16_64 0
		.amdhsa_float_denorm_mode_32 3
		.amdhsa_float_denorm_mode_16_64 3
		.amdhsa_dx10_clamp 1
		.amdhsa_ieee_mode 1
		.amdhsa_fp16_overflow 0
		.amdhsa_tg_split 0
		.amdhsa_exception_fp_ieee_invalid_op 0
		.amdhsa_exception_fp_denorm_src 0
		.amdhsa_exception_fp_ieee_div_zero 0
		.amdhsa_exception_fp_ieee_overflow 0
		.amdhsa_exception_fp_ieee_underflow 0
		.amdhsa_exception_fp_ieee_inexact 0
		.amdhsa_exception_int_div_zero 0
	.end_amdhsa_kernel
	.section	.text._Z16warp_load_kernelILj1024ELj4ELj1ELN7rocprim17ROCPRIM_304000_NS16warp_load_methodE2E12hip_bfloat16EvPT3_S5_,"axG",@progbits,_Z16warp_load_kernelILj1024ELj4ELj1ELN7rocprim17ROCPRIM_304000_NS16warp_load_methodE2E12hip_bfloat16EvPT3_S5_,comdat
.Lfunc_end1:
	.size	_Z16warp_load_kernelILj1024ELj4ELj1ELN7rocprim17ROCPRIM_304000_NS16warp_load_methodE2E12hip_bfloat16EvPT3_S5_, .Lfunc_end1-_Z16warp_load_kernelILj1024ELj4ELj1ELN7rocprim17ROCPRIM_304000_NS16warp_load_methodE2E12hip_bfloat16EvPT3_S5_
                                        ; -- End function
	.section	.AMDGPU.csdata,"",@progbits
; Kernel info:
; codeLenInByte = 56
; NumSgprs: 10
; NumVgprs: 3
; NumAgprs: 0
; TotalNumVgprs: 3
; ScratchSize: 0
; MemoryBound: 0
; FloatMode: 240
; IeeeMode: 1
; LDSByteSize: 0 bytes/workgroup (compile time only)
; SGPRBlocks: 1
; VGPRBlocks: 0
; NumSGPRsForWavesPerEU: 10
; NumVGPRsForWavesPerEU: 3
; AccumOffset: 4
; Occupancy: 8
; WaveLimiterHint : 0
; COMPUTE_PGM_RSRC2:SCRATCH_EN: 0
; COMPUTE_PGM_RSRC2:USER_SGPR: 6
; COMPUTE_PGM_RSRC2:TRAP_HANDLER: 0
; COMPUTE_PGM_RSRC2:TGID_X_EN: 1
; COMPUTE_PGM_RSRC2:TGID_Y_EN: 0
; COMPUTE_PGM_RSRC2:TGID_Z_EN: 0
; COMPUTE_PGM_RSRC2:TIDIG_COMP_CNT: 0
; COMPUTE_PGM_RSRC3_GFX90A:ACCUM_OFFSET: 0
; COMPUTE_PGM_RSRC3_GFX90A:TG_SPLIT: 0
	.section	.text._Z16warp_load_kernelILj1024ELj4ELj1ELN7rocprim17ROCPRIM_304000_NS16warp_load_methodE1E12hip_bfloat16EvPT3_S5_,"axG",@progbits,_Z16warp_load_kernelILj1024ELj4ELj1ELN7rocprim17ROCPRIM_304000_NS16warp_load_methodE1E12hip_bfloat16EvPT3_S5_,comdat
	.protected	_Z16warp_load_kernelILj1024ELj4ELj1ELN7rocprim17ROCPRIM_304000_NS16warp_load_methodE1E12hip_bfloat16EvPT3_S5_ ; -- Begin function _Z16warp_load_kernelILj1024ELj4ELj1ELN7rocprim17ROCPRIM_304000_NS16warp_load_methodE1E12hip_bfloat16EvPT3_S5_
	.globl	_Z16warp_load_kernelILj1024ELj4ELj1ELN7rocprim17ROCPRIM_304000_NS16warp_load_methodE1E12hip_bfloat16EvPT3_S5_
	.p2align	8
	.type	_Z16warp_load_kernelILj1024ELj4ELj1ELN7rocprim17ROCPRIM_304000_NS16warp_load_methodE1E12hip_bfloat16EvPT3_S5_,@function
_Z16warp_load_kernelILj1024ELj4ELj1ELN7rocprim17ROCPRIM_304000_NS16warp_load_methodE1E12hip_bfloat16EvPT3_S5_: ; @_Z16warp_load_kernelILj1024ELj4ELj1ELN7rocprim17ROCPRIM_304000_NS16warp_load_methodE1E12hip_bfloat16EvPT3_S5_
; %bb.0:
	s_load_dwordx4 s[0:3], s[4:5], 0x0
	v_lshlrev_b32_e32 v2, 3, v0
	s_waitcnt lgkmcnt(0)
	global_load_dwordx2 v[0:1], v2, s[0:1]
	s_waitcnt vmcnt(0)
	global_store_dwordx2 v2, v[0:1], s[2:3]
	s_endpgm
	.section	.rodata,"a",@progbits
	.p2align	6, 0x0
	.amdhsa_kernel _Z16warp_load_kernelILj1024ELj4ELj1ELN7rocprim17ROCPRIM_304000_NS16warp_load_methodE1E12hip_bfloat16EvPT3_S5_
		.amdhsa_group_segment_fixed_size 0
		.amdhsa_private_segment_fixed_size 0
		.amdhsa_kernarg_size 16
		.amdhsa_user_sgpr_count 6
		.amdhsa_user_sgpr_private_segment_buffer 1
		.amdhsa_user_sgpr_dispatch_ptr 0
		.amdhsa_user_sgpr_queue_ptr 0
		.amdhsa_user_sgpr_kernarg_segment_ptr 1
		.amdhsa_user_sgpr_dispatch_id 0
		.amdhsa_user_sgpr_flat_scratch_init 0
		.amdhsa_user_sgpr_kernarg_preload_length 0
		.amdhsa_user_sgpr_kernarg_preload_offset 0
		.amdhsa_user_sgpr_private_segment_size 0
		.amdhsa_uses_dynamic_stack 0
		.amdhsa_system_sgpr_private_segment_wavefront_offset 0
		.amdhsa_system_sgpr_workgroup_id_x 1
		.amdhsa_system_sgpr_workgroup_id_y 0
		.amdhsa_system_sgpr_workgroup_id_z 0
		.amdhsa_system_sgpr_workgroup_info 0
		.amdhsa_system_vgpr_workitem_id 0
		.amdhsa_next_free_vgpr 3
		.amdhsa_next_free_sgpr 6
		.amdhsa_accum_offset 4
		.amdhsa_reserve_vcc 0
		.amdhsa_reserve_flat_scratch 0
		.amdhsa_float_round_mode_32 0
		.amdhsa_float_round_mode_16_64 0
		.amdhsa_float_denorm_mode_32 3
		.amdhsa_float_denorm_mode_16_64 3
		.amdhsa_dx10_clamp 1
		.amdhsa_ieee_mode 1
		.amdhsa_fp16_overflow 0
		.amdhsa_tg_split 0
		.amdhsa_exception_fp_ieee_invalid_op 0
		.amdhsa_exception_fp_denorm_src 0
		.amdhsa_exception_fp_ieee_div_zero 0
		.amdhsa_exception_fp_ieee_overflow 0
		.amdhsa_exception_fp_ieee_underflow 0
		.amdhsa_exception_fp_ieee_inexact 0
		.amdhsa_exception_int_div_zero 0
	.end_amdhsa_kernel
	.section	.text._Z16warp_load_kernelILj1024ELj4ELj1ELN7rocprim17ROCPRIM_304000_NS16warp_load_methodE1E12hip_bfloat16EvPT3_S5_,"axG",@progbits,_Z16warp_load_kernelILj1024ELj4ELj1ELN7rocprim17ROCPRIM_304000_NS16warp_load_methodE1E12hip_bfloat16EvPT3_S5_,comdat
.Lfunc_end2:
	.size	_Z16warp_load_kernelILj1024ELj4ELj1ELN7rocprim17ROCPRIM_304000_NS16warp_load_methodE1E12hip_bfloat16EvPT3_S5_, .Lfunc_end2-_Z16warp_load_kernelILj1024ELj4ELj1ELN7rocprim17ROCPRIM_304000_NS16warp_load_methodE1E12hip_bfloat16EvPT3_S5_
                                        ; -- End function
	.section	.AMDGPU.csdata,"",@progbits
; Kernel info:
; codeLenInByte = 40
; NumSgprs: 10
; NumVgprs: 3
; NumAgprs: 0
; TotalNumVgprs: 3
; ScratchSize: 0
; MemoryBound: 0
; FloatMode: 240
; IeeeMode: 1
; LDSByteSize: 0 bytes/workgroup (compile time only)
; SGPRBlocks: 1
; VGPRBlocks: 0
; NumSGPRsForWavesPerEU: 10
; NumVGPRsForWavesPerEU: 3
; AccumOffset: 4
; Occupancy: 8
; WaveLimiterHint : 0
; COMPUTE_PGM_RSRC2:SCRATCH_EN: 0
; COMPUTE_PGM_RSRC2:USER_SGPR: 6
; COMPUTE_PGM_RSRC2:TRAP_HANDLER: 0
; COMPUTE_PGM_RSRC2:TGID_X_EN: 1
; COMPUTE_PGM_RSRC2:TGID_Y_EN: 0
; COMPUTE_PGM_RSRC2:TGID_Z_EN: 0
; COMPUTE_PGM_RSRC2:TIDIG_COMP_CNT: 0
; COMPUTE_PGM_RSRC3_GFX90A:ACCUM_OFFSET: 0
; COMPUTE_PGM_RSRC3_GFX90A:TG_SPLIT: 0
	.section	.text._Z16warp_load_kernelILj1024ELj4ELj1ELN7rocprim17ROCPRIM_304000_NS16warp_load_methodE0E12hip_bfloat16EvPT3_S5_,"axG",@progbits,_Z16warp_load_kernelILj1024ELj4ELj1ELN7rocprim17ROCPRIM_304000_NS16warp_load_methodE0E12hip_bfloat16EvPT3_S5_,comdat
	.protected	_Z16warp_load_kernelILj1024ELj4ELj1ELN7rocprim17ROCPRIM_304000_NS16warp_load_methodE0E12hip_bfloat16EvPT3_S5_ ; -- Begin function _Z16warp_load_kernelILj1024ELj4ELj1ELN7rocprim17ROCPRIM_304000_NS16warp_load_methodE0E12hip_bfloat16EvPT3_S5_
	.globl	_Z16warp_load_kernelILj1024ELj4ELj1ELN7rocprim17ROCPRIM_304000_NS16warp_load_methodE0E12hip_bfloat16EvPT3_S5_
	.p2align	8
	.type	_Z16warp_load_kernelILj1024ELj4ELj1ELN7rocprim17ROCPRIM_304000_NS16warp_load_methodE0E12hip_bfloat16EvPT3_S5_,@function
_Z16warp_load_kernelILj1024ELj4ELj1ELN7rocprim17ROCPRIM_304000_NS16warp_load_methodE0E12hip_bfloat16EvPT3_S5_: ; @_Z16warp_load_kernelILj1024ELj4ELj1ELN7rocprim17ROCPRIM_304000_NS16warp_load_methodE0E12hip_bfloat16EvPT3_S5_
; %bb.0:
	s_load_dwordx4 s[0:3], s[4:5], 0x0
	v_lshlrev_b32_e32 v2, 3, v0
	s_waitcnt lgkmcnt(0)
	global_load_dwordx2 v[0:1], v2, s[0:1]
	s_waitcnt vmcnt(0)
	global_store_dwordx2 v2, v[0:1], s[2:3]
	s_endpgm
	.section	.rodata,"a",@progbits
	.p2align	6, 0x0
	.amdhsa_kernel _Z16warp_load_kernelILj1024ELj4ELj1ELN7rocprim17ROCPRIM_304000_NS16warp_load_methodE0E12hip_bfloat16EvPT3_S5_
		.amdhsa_group_segment_fixed_size 0
		.amdhsa_private_segment_fixed_size 0
		.amdhsa_kernarg_size 16
		.amdhsa_user_sgpr_count 6
		.amdhsa_user_sgpr_private_segment_buffer 1
		.amdhsa_user_sgpr_dispatch_ptr 0
		.amdhsa_user_sgpr_queue_ptr 0
		.amdhsa_user_sgpr_kernarg_segment_ptr 1
		.amdhsa_user_sgpr_dispatch_id 0
		.amdhsa_user_sgpr_flat_scratch_init 0
		.amdhsa_user_sgpr_kernarg_preload_length 0
		.amdhsa_user_sgpr_kernarg_preload_offset 0
		.amdhsa_user_sgpr_private_segment_size 0
		.amdhsa_uses_dynamic_stack 0
		.amdhsa_system_sgpr_private_segment_wavefront_offset 0
		.amdhsa_system_sgpr_workgroup_id_x 1
		.amdhsa_system_sgpr_workgroup_id_y 0
		.amdhsa_system_sgpr_workgroup_id_z 0
		.amdhsa_system_sgpr_workgroup_info 0
		.amdhsa_system_vgpr_workitem_id 0
		.amdhsa_next_free_vgpr 3
		.amdhsa_next_free_sgpr 6
		.amdhsa_accum_offset 4
		.amdhsa_reserve_vcc 0
		.amdhsa_reserve_flat_scratch 0
		.amdhsa_float_round_mode_32 0
		.amdhsa_float_round_mode_16_64 0
		.amdhsa_float_denorm_mode_32 3
		.amdhsa_float_denorm_mode_16_64 3
		.amdhsa_dx10_clamp 1
		.amdhsa_ieee_mode 1
		.amdhsa_fp16_overflow 0
		.amdhsa_tg_split 0
		.amdhsa_exception_fp_ieee_invalid_op 0
		.amdhsa_exception_fp_denorm_src 0
		.amdhsa_exception_fp_ieee_div_zero 0
		.amdhsa_exception_fp_ieee_overflow 0
		.amdhsa_exception_fp_ieee_underflow 0
		.amdhsa_exception_fp_ieee_inexact 0
		.amdhsa_exception_int_div_zero 0
	.end_amdhsa_kernel
	.section	.text._Z16warp_load_kernelILj1024ELj4ELj1ELN7rocprim17ROCPRIM_304000_NS16warp_load_methodE0E12hip_bfloat16EvPT3_S5_,"axG",@progbits,_Z16warp_load_kernelILj1024ELj4ELj1ELN7rocprim17ROCPRIM_304000_NS16warp_load_methodE0E12hip_bfloat16EvPT3_S5_,comdat
.Lfunc_end3:
	.size	_Z16warp_load_kernelILj1024ELj4ELj1ELN7rocprim17ROCPRIM_304000_NS16warp_load_methodE0E12hip_bfloat16EvPT3_S5_, .Lfunc_end3-_Z16warp_load_kernelILj1024ELj4ELj1ELN7rocprim17ROCPRIM_304000_NS16warp_load_methodE0E12hip_bfloat16EvPT3_S5_
                                        ; -- End function
	.section	.AMDGPU.csdata,"",@progbits
; Kernel info:
; codeLenInByte = 40
; NumSgprs: 10
; NumVgprs: 3
; NumAgprs: 0
; TotalNumVgprs: 3
; ScratchSize: 0
; MemoryBound: 0
; FloatMode: 240
; IeeeMode: 1
; LDSByteSize: 0 bytes/workgroup (compile time only)
; SGPRBlocks: 1
; VGPRBlocks: 0
; NumSGPRsForWavesPerEU: 10
; NumVGPRsForWavesPerEU: 3
; AccumOffset: 4
; Occupancy: 8
; WaveLimiterHint : 0
; COMPUTE_PGM_RSRC2:SCRATCH_EN: 0
; COMPUTE_PGM_RSRC2:USER_SGPR: 6
; COMPUTE_PGM_RSRC2:TRAP_HANDLER: 0
; COMPUTE_PGM_RSRC2:TGID_X_EN: 1
; COMPUTE_PGM_RSRC2:TGID_Y_EN: 0
; COMPUTE_PGM_RSRC2:TGID_Z_EN: 0
; COMPUTE_PGM_RSRC2:TIDIG_COMP_CNT: 0
; COMPUTE_PGM_RSRC3_GFX90A:ACCUM_OFFSET: 0
; COMPUTE_PGM_RSRC3_GFX90A:TG_SPLIT: 0
	.section	.text._Z16warp_load_kernelILj1024ELj4ELj1ELN7rocprim17ROCPRIM_304000_NS16warp_load_methodE3EdEvPT3_S4_,"axG",@progbits,_Z16warp_load_kernelILj1024ELj4ELj1ELN7rocprim17ROCPRIM_304000_NS16warp_load_methodE3EdEvPT3_S4_,comdat
	.protected	_Z16warp_load_kernelILj1024ELj4ELj1ELN7rocprim17ROCPRIM_304000_NS16warp_load_methodE3EdEvPT3_S4_ ; -- Begin function _Z16warp_load_kernelILj1024ELj4ELj1ELN7rocprim17ROCPRIM_304000_NS16warp_load_methodE3EdEvPT3_S4_
	.globl	_Z16warp_load_kernelILj1024ELj4ELj1ELN7rocprim17ROCPRIM_304000_NS16warp_load_methodE3EdEvPT3_S4_
	.p2align	8
	.type	_Z16warp_load_kernelILj1024ELj4ELj1ELN7rocprim17ROCPRIM_304000_NS16warp_load_methodE3EdEvPT3_S4_,@function
_Z16warp_load_kernelILj1024ELj4ELj1ELN7rocprim17ROCPRIM_304000_NS16warp_load_methodE3EdEvPT3_S4_: ; @_Z16warp_load_kernelILj1024ELj4ELj1ELN7rocprim17ROCPRIM_304000_NS16warp_load_methodE3EdEvPT3_S4_
; %bb.0:
	s_load_dwordx4 s[0:3], s[4:5], 0x0
	v_lshlrev_b32_e32 v8, 5, v0
	s_waitcnt lgkmcnt(0)
	global_load_dwordx4 v[0:3], v8, s[0:1]
	global_load_dwordx4 v[4:7], v8, s[0:1] offset:16
	s_waitcnt vmcnt(1)
	ds_write_b128 v8, v[0:3]
	s_waitcnt vmcnt(0)
	ds_write_b128 v8, v[4:7] offset:16
	; wave barrier
	ds_read_b128 v[0:3], v8
	ds_read_b128 v[4:7], v8 offset:16
	s_waitcnt lgkmcnt(1)
	global_store_dwordx4 v8, v[0:3], s[2:3]
	s_waitcnt lgkmcnt(0)
	global_store_dwordx4 v8, v[4:7], s[2:3] offset:16
	s_endpgm
	.section	.rodata,"a",@progbits
	.p2align	6, 0x0
	.amdhsa_kernel _Z16warp_load_kernelILj1024ELj4ELj1ELN7rocprim17ROCPRIM_304000_NS16warp_load_methodE3EdEvPT3_S4_
		.amdhsa_group_segment_fixed_size 32768
		.amdhsa_private_segment_fixed_size 0
		.amdhsa_kernarg_size 16
		.amdhsa_user_sgpr_count 6
		.amdhsa_user_sgpr_private_segment_buffer 1
		.amdhsa_user_sgpr_dispatch_ptr 0
		.amdhsa_user_sgpr_queue_ptr 0
		.amdhsa_user_sgpr_kernarg_segment_ptr 1
		.amdhsa_user_sgpr_dispatch_id 0
		.amdhsa_user_sgpr_flat_scratch_init 0
		.amdhsa_user_sgpr_kernarg_preload_length 0
		.amdhsa_user_sgpr_kernarg_preload_offset 0
		.amdhsa_user_sgpr_private_segment_size 0
		.amdhsa_uses_dynamic_stack 0
		.amdhsa_system_sgpr_private_segment_wavefront_offset 0
		.amdhsa_system_sgpr_workgroup_id_x 1
		.amdhsa_system_sgpr_workgroup_id_y 0
		.amdhsa_system_sgpr_workgroup_id_z 0
		.amdhsa_system_sgpr_workgroup_info 0
		.amdhsa_system_vgpr_workitem_id 0
		.amdhsa_next_free_vgpr 9
		.amdhsa_next_free_sgpr 6
		.amdhsa_accum_offset 12
		.amdhsa_reserve_vcc 0
		.amdhsa_reserve_flat_scratch 0
		.amdhsa_float_round_mode_32 0
		.amdhsa_float_round_mode_16_64 0
		.amdhsa_float_denorm_mode_32 3
		.amdhsa_float_denorm_mode_16_64 3
		.amdhsa_dx10_clamp 1
		.amdhsa_ieee_mode 1
		.amdhsa_fp16_overflow 0
		.amdhsa_tg_split 0
		.amdhsa_exception_fp_ieee_invalid_op 0
		.amdhsa_exception_fp_denorm_src 0
		.amdhsa_exception_fp_ieee_div_zero 0
		.amdhsa_exception_fp_ieee_overflow 0
		.amdhsa_exception_fp_ieee_underflow 0
		.amdhsa_exception_fp_ieee_inexact 0
		.amdhsa_exception_int_div_zero 0
	.end_amdhsa_kernel
	.section	.text._Z16warp_load_kernelILj1024ELj4ELj1ELN7rocprim17ROCPRIM_304000_NS16warp_load_methodE3EdEvPT3_S4_,"axG",@progbits,_Z16warp_load_kernelILj1024ELj4ELj1ELN7rocprim17ROCPRIM_304000_NS16warp_load_methodE3EdEvPT3_S4_,comdat
.Lfunc_end4:
	.size	_Z16warp_load_kernelILj1024ELj4ELj1ELN7rocprim17ROCPRIM_304000_NS16warp_load_methodE3EdEvPT3_S4_, .Lfunc_end4-_Z16warp_load_kernelILj1024ELj4ELj1ELN7rocprim17ROCPRIM_304000_NS16warp_load_methodE3EdEvPT3_S4_
                                        ; -- End function
	.section	.AMDGPU.csdata,"",@progbits
; Kernel info:
; codeLenInByte = 100
; NumSgprs: 10
; NumVgprs: 9
; NumAgprs: 0
; TotalNumVgprs: 9
; ScratchSize: 0
; MemoryBound: 1
; FloatMode: 240
; IeeeMode: 1
; LDSByteSize: 32768 bytes/workgroup (compile time only)
; SGPRBlocks: 1
; VGPRBlocks: 1
; NumSGPRsForWavesPerEU: 10
; NumVGPRsForWavesPerEU: 9
; AccumOffset: 12
; Occupancy: 8
; WaveLimiterHint : 1
; COMPUTE_PGM_RSRC2:SCRATCH_EN: 0
; COMPUTE_PGM_RSRC2:USER_SGPR: 6
; COMPUTE_PGM_RSRC2:TRAP_HANDLER: 0
; COMPUTE_PGM_RSRC2:TGID_X_EN: 1
; COMPUTE_PGM_RSRC2:TGID_Y_EN: 0
; COMPUTE_PGM_RSRC2:TGID_Z_EN: 0
; COMPUTE_PGM_RSRC2:TIDIG_COMP_CNT: 0
; COMPUTE_PGM_RSRC3_GFX90A:ACCUM_OFFSET: 2
; COMPUTE_PGM_RSRC3_GFX90A:TG_SPLIT: 0
	.section	.text._Z16warp_load_kernelILj1024ELj4ELj1ELN7rocprim17ROCPRIM_304000_NS16warp_load_methodE2EdEvPT3_S4_,"axG",@progbits,_Z16warp_load_kernelILj1024ELj4ELj1ELN7rocprim17ROCPRIM_304000_NS16warp_load_methodE2EdEvPT3_S4_,comdat
	.protected	_Z16warp_load_kernelILj1024ELj4ELj1ELN7rocprim17ROCPRIM_304000_NS16warp_load_methodE2EdEvPT3_S4_ ; -- Begin function _Z16warp_load_kernelILj1024ELj4ELj1ELN7rocprim17ROCPRIM_304000_NS16warp_load_methodE2EdEvPT3_S4_
	.globl	_Z16warp_load_kernelILj1024ELj4ELj1ELN7rocprim17ROCPRIM_304000_NS16warp_load_methodE2EdEvPT3_S4_
	.p2align	8
	.type	_Z16warp_load_kernelILj1024ELj4ELj1ELN7rocprim17ROCPRIM_304000_NS16warp_load_methodE2EdEvPT3_S4_,@function
_Z16warp_load_kernelILj1024ELj4ELj1ELN7rocprim17ROCPRIM_304000_NS16warp_load_methodE2EdEvPT3_S4_: ; @_Z16warp_load_kernelILj1024ELj4ELj1ELN7rocprim17ROCPRIM_304000_NS16warp_load_methodE2EdEvPT3_S4_
; %bb.0:
	s_load_dwordx4 s[0:3], s[4:5], 0x0
	v_lshlrev_b32_e32 v8, 5, v0
	s_waitcnt lgkmcnt(0)
	global_load_dwordx4 v[0:3], v8, s[0:1]
	global_load_dwordx4 v[4:7], v8, s[0:1] offset:16
	s_waitcnt vmcnt(1)
	global_store_dwordx4 v8, v[0:3], s[2:3]
	s_waitcnt vmcnt(1)
	global_store_dwordx4 v8, v[4:7], s[2:3] offset:16
	s_endpgm
	.section	.rodata,"a",@progbits
	.p2align	6, 0x0
	.amdhsa_kernel _Z16warp_load_kernelILj1024ELj4ELj1ELN7rocprim17ROCPRIM_304000_NS16warp_load_methodE2EdEvPT3_S4_
		.amdhsa_group_segment_fixed_size 0
		.amdhsa_private_segment_fixed_size 0
		.amdhsa_kernarg_size 16
		.amdhsa_user_sgpr_count 6
		.amdhsa_user_sgpr_private_segment_buffer 1
		.amdhsa_user_sgpr_dispatch_ptr 0
		.amdhsa_user_sgpr_queue_ptr 0
		.amdhsa_user_sgpr_kernarg_segment_ptr 1
		.amdhsa_user_sgpr_dispatch_id 0
		.amdhsa_user_sgpr_flat_scratch_init 0
		.amdhsa_user_sgpr_kernarg_preload_length 0
		.amdhsa_user_sgpr_kernarg_preload_offset 0
		.amdhsa_user_sgpr_private_segment_size 0
		.amdhsa_uses_dynamic_stack 0
		.amdhsa_system_sgpr_private_segment_wavefront_offset 0
		.amdhsa_system_sgpr_workgroup_id_x 1
		.amdhsa_system_sgpr_workgroup_id_y 0
		.amdhsa_system_sgpr_workgroup_id_z 0
		.amdhsa_system_sgpr_workgroup_info 0
		.amdhsa_system_vgpr_workitem_id 0
		.amdhsa_next_free_vgpr 9
		.amdhsa_next_free_sgpr 6
		.amdhsa_accum_offset 12
		.amdhsa_reserve_vcc 0
		.amdhsa_reserve_flat_scratch 0
		.amdhsa_float_round_mode_32 0
		.amdhsa_float_round_mode_16_64 0
		.amdhsa_float_denorm_mode_32 3
		.amdhsa_float_denorm_mode_16_64 3
		.amdhsa_dx10_clamp 1
		.amdhsa_ieee_mode 1
		.amdhsa_fp16_overflow 0
		.amdhsa_tg_split 0
		.amdhsa_exception_fp_ieee_invalid_op 0
		.amdhsa_exception_fp_denorm_src 0
		.amdhsa_exception_fp_ieee_div_zero 0
		.amdhsa_exception_fp_ieee_overflow 0
		.amdhsa_exception_fp_ieee_underflow 0
		.amdhsa_exception_fp_ieee_inexact 0
		.amdhsa_exception_int_div_zero 0
	.end_amdhsa_kernel
	.section	.text._Z16warp_load_kernelILj1024ELj4ELj1ELN7rocprim17ROCPRIM_304000_NS16warp_load_methodE2EdEvPT3_S4_,"axG",@progbits,_Z16warp_load_kernelILj1024ELj4ELj1ELN7rocprim17ROCPRIM_304000_NS16warp_load_methodE2EdEvPT3_S4_,comdat
.Lfunc_end5:
	.size	_Z16warp_load_kernelILj1024ELj4ELj1ELN7rocprim17ROCPRIM_304000_NS16warp_load_methodE2EdEvPT3_S4_, .Lfunc_end5-_Z16warp_load_kernelILj1024ELj4ELj1ELN7rocprim17ROCPRIM_304000_NS16warp_load_methodE2EdEvPT3_S4_
                                        ; -- End function
	.section	.AMDGPU.csdata,"",@progbits
; Kernel info:
; codeLenInByte = 60
; NumSgprs: 10
; NumVgprs: 9
; NumAgprs: 0
; TotalNumVgprs: 9
; ScratchSize: 0
; MemoryBound: 1
; FloatMode: 240
; IeeeMode: 1
; LDSByteSize: 0 bytes/workgroup (compile time only)
; SGPRBlocks: 1
; VGPRBlocks: 1
; NumSGPRsForWavesPerEU: 10
; NumVGPRsForWavesPerEU: 9
; AccumOffset: 12
; Occupancy: 8
; WaveLimiterHint : 1
; COMPUTE_PGM_RSRC2:SCRATCH_EN: 0
; COMPUTE_PGM_RSRC2:USER_SGPR: 6
; COMPUTE_PGM_RSRC2:TRAP_HANDLER: 0
; COMPUTE_PGM_RSRC2:TGID_X_EN: 1
; COMPUTE_PGM_RSRC2:TGID_Y_EN: 0
; COMPUTE_PGM_RSRC2:TGID_Z_EN: 0
; COMPUTE_PGM_RSRC2:TIDIG_COMP_CNT: 0
; COMPUTE_PGM_RSRC3_GFX90A:ACCUM_OFFSET: 2
; COMPUTE_PGM_RSRC3_GFX90A:TG_SPLIT: 0
	.section	.text._Z16warp_load_kernelILj1024ELj4ELj1ELN7rocprim17ROCPRIM_304000_NS16warp_load_methodE1EdEvPT3_S4_,"axG",@progbits,_Z16warp_load_kernelILj1024ELj4ELj1ELN7rocprim17ROCPRIM_304000_NS16warp_load_methodE1EdEvPT3_S4_,comdat
	.protected	_Z16warp_load_kernelILj1024ELj4ELj1ELN7rocprim17ROCPRIM_304000_NS16warp_load_methodE1EdEvPT3_S4_ ; -- Begin function _Z16warp_load_kernelILj1024ELj4ELj1ELN7rocprim17ROCPRIM_304000_NS16warp_load_methodE1EdEvPT3_S4_
	.globl	_Z16warp_load_kernelILj1024ELj4ELj1ELN7rocprim17ROCPRIM_304000_NS16warp_load_methodE1EdEvPT3_S4_
	.p2align	8
	.type	_Z16warp_load_kernelILj1024ELj4ELj1ELN7rocprim17ROCPRIM_304000_NS16warp_load_methodE1EdEvPT3_S4_,@function
_Z16warp_load_kernelILj1024ELj4ELj1ELN7rocprim17ROCPRIM_304000_NS16warp_load_methodE1EdEvPT3_S4_: ; @_Z16warp_load_kernelILj1024ELj4ELj1ELN7rocprim17ROCPRIM_304000_NS16warp_load_methodE1EdEvPT3_S4_
; %bb.0:
	s_load_dwordx4 s[0:3], s[4:5], 0x0
	v_lshlrev_b32_e32 v8, 5, v0
	s_waitcnt lgkmcnt(0)
	global_load_dwordx4 v[0:3], v8, s[0:1]
	global_load_dwordx4 v[4:7], v8, s[0:1] offset:16
	s_waitcnt vmcnt(1)
	global_store_dwordx4 v8, v[0:3], s[2:3]
	s_waitcnt vmcnt(1)
	global_store_dwordx4 v8, v[4:7], s[2:3] offset:16
	s_endpgm
	.section	.rodata,"a",@progbits
	.p2align	6, 0x0
	.amdhsa_kernel _Z16warp_load_kernelILj1024ELj4ELj1ELN7rocprim17ROCPRIM_304000_NS16warp_load_methodE1EdEvPT3_S4_
		.amdhsa_group_segment_fixed_size 0
		.amdhsa_private_segment_fixed_size 0
		.amdhsa_kernarg_size 16
		.amdhsa_user_sgpr_count 6
		.amdhsa_user_sgpr_private_segment_buffer 1
		.amdhsa_user_sgpr_dispatch_ptr 0
		.amdhsa_user_sgpr_queue_ptr 0
		.amdhsa_user_sgpr_kernarg_segment_ptr 1
		.amdhsa_user_sgpr_dispatch_id 0
		.amdhsa_user_sgpr_flat_scratch_init 0
		.amdhsa_user_sgpr_kernarg_preload_length 0
		.amdhsa_user_sgpr_kernarg_preload_offset 0
		.amdhsa_user_sgpr_private_segment_size 0
		.amdhsa_uses_dynamic_stack 0
		.amdhsa_system_sgpr_private_segment_wavefront_offset 0
		.amdhsa_system_sgpr_workgroup_id_x 1
		.amdhsa_system_sgpr_workgroup_id_y 0
		.amdhsa_system_sgpr_workgroup_id_z 0
		.amdhsa_system_sgpr_workgroup_info 0
		.amdhsa_system_vgpr_workitem_id 0
		.amdhsa_next_free_vgpr 9
		.amdhsa_next_free_sgpr 6
		.amdhsa_accum_offset 12
		.amdhsa_reserve_vcc 0
		.amdhsa_reserve_flat_scratch 0
		.amdhsa_float_round_mode_32 0
		.amdhsa_float_round_mode_16_64 0
		.amdhsa_float_denorm_mode_32 3
		.amdhsa_float_denorm_mode_16_64 3
		.amdhsa_dx10_clamp 1
		.amdhsa_ieee_mode 1
		.amdhsa_fp16_overflow 0
		.amdhsa_tg_split 0
		.amdhsa_exception_fp_ieee_invalid_op 0
		.amdhsa_exception_fp_denorm_src 0
		.amdhsa_exception_fp_ieee_div_zero 0
		.amdhsa_exception_fp_ieee_overflow 0
		.amdhsa_exception_fp_ieee_underflow 0
		.amdhsa_exception_fp_ieee_inexact 0
		.amdhsa_exception_int_div_zero 0
	.end_amdhsa_kernel
	.section	.text._Z16warp_load_kernelILj1024ELj4ELj1ELN7rocprim17ROCPRIM_304000_NS16warp_load_methodE1EdEvPT3_S4_,"axG",@progbits,_Z16warp_load_kernelILj1024ELj4ELj1ELN7rocprim17ROCPRIM_304000_NS16warp_load_methodE1EdEvPT3_S4_,comdat
.Lfunc_end6:
	.size	_Z16warp_load_kernelILj1024ELj4ELj1ELN7rocprim17ROCPRIM_304000_NS16warp_load_methodE1EdEvPT3_S4_, .Lfunc_end6-_Z16warp_load_kernelILj1024ELj4ELj1ELN7rocprim17ROCPRIM_304000_NS16warp_load_methodE1EdEvPT3_S4_
                                        ; -- End function
	.section	.AMDGPU.csdata,"",@progbits
; Kernel info:
; codeLenInByte = 60
; NumSgprs: 10
; NumVgprs: 9
; NumAgprs: 0
; TotalNumVgprs: 9
; ScratchSize: 0
; MemoryBound: 1
; FloatMode: 240
; IeeeMode: 1
; LDSByteSize: 0 bytes/workgroup (compile time only)
; SGPRBlocks: 1
; VGPRBlocks: 1
; NumSGPRsForWavesPerEU: 10
; NumVGPRsForWavesPerEU: 9
; AccumOffset: 12
; Occupancy: 8
; WaveLimiterHint : 1
; COMPUTE_PGM_RSRC2:SCRATCH_EN: 0
; COMPUTE_PGM_RSRC2:USER_SGPR: 6
; COMPUTE_PGM_RSRC2:TRAP_HANDLER: 0
; COMPUTE_PGM_RSRC2:TGID_X_EN: 1
; COMPUTE_PGM_RSRC2:TGID_Y_EN: 0
; COMPUTE_PGM_RSRC2:TGID_Z_EN: 0
; COMPUTE_PGM_RSRC2:TIDIG_COMP_CNT: 0
; COMPUTE_PGM_RSRC3_GFX90A:ACCUM_OFFSET: 2
; COMPUTE_PGM_RSRC3_GFX90A:TG_SPLIT: 0
	.section	.text._Z16warp_load_kernelILj1024ELj4ELj1ELN7rocprim17ROCPRIM_304000_NS16warp_load_methodE0EdEvPT3_S4_,"axG",@progbits,_Z16warp_load_kernelILj1024ELj4ELj1ELN7rocprim17ROCPRIM_304000_NS16warp_load_methodE0EdEvPT3_S4_,comdat
	.protected	_Z16warp_load_kernelILj1024ELj4ELj1ELN7rocprim17ROCPRIM_304000_NS16warp_load_methodE0EdEvPT3_S4_ ; -- Begin function _Z16warp_load_kernelILj1024ELj4ELj1ELN7rocprim17ROCPRIM_304000_NS16warp_load_methodE0EdEvPT3_S4_
	.globl	_Z16warp_load_kernelILj1024ELj4ELj1ELN7rocprim17ROCPRIM_304000_NS16warp_load_methodE0EdEvPT3_S4_
	.p2align	8
	.type	_Z16warp_load_kernelILj1024ELj4ELj1ELN7rocprim17ROCPRIM_304000_NS16warp_load_methodE0EdEvPT3_S4_,@function
_Z16warp_load_kernelILj1024ELj4ELj1ELN7rocprim17ROCPRIM_304000_NS16warp_load_methodE0EdEvPT3_S4_: ; @_Z16warp_load_kernelILj1024ELj4ELj1ELN7rocprim17ROCPRIM_304000_NS16warp_load_methodE0EdEvPT3_S4_
; %bb.0:
	s_load_dwordx4 s[0:3], s[4:5], 0x0
	v_lshlrev_b32_e32 v8, 5, v0
	s_waitcnt lgkmcnt(0)
	global_load_dwordx4 v[0:3], v8, s[0:1]
	global_load_dwordx4 v[4:7], v8, s[0:1] offset:16
	s_waitcnt vmcnt(1)
	global_store_dwordx4 v8, v[0:3], s[2:3]
	s_waitcnt vmcnt(1)
	global_store_dwordx4 v8, v[4:7], s[2:3] offset:16
	s_endpgm
	.section	.rodata,"a",@progbits
	.p2align	6, 0x0
	.amdhsa_kernel _Z16warp_load_kernelILj1024ELj4ELj1ELN7rocprim17ROCPRIM_304000_NS16warp_load_methodE0EdEvPT3_S4_
		.amdhsa_group_segment_fixed_size 0
		.amdhsa_private_segment_fixed_size 0
		.amdhsa_kernarg_size 16
		.amdhsa_user_sgpr_count 6
		.amdhsa_user_sgpr_private_segment_buffer 1
		.amdhsa_user_sgpr_dispatch_ptr 0
		.amdhsa_user_sgpr_queue_ptr 0
		.amdhsa_user_sgpr_kernarg_segment_ptr 1
		.amdhsa_user_sgpr_dispatch_id 0
		.amdhsa_user_sgpr_flat_scratch_init 0
		.amdhsa_user_sgpr_kernarg_preload_length 0
		.amdhsa_user_sgpr_kernarg_preload_offset 0
		.amdhsa_user_sgpr_private_segment_size 0
		.amdhsa_uses_dynamic_stack 0
		.amdhsa_system_sgpr_private_segment_wavefront_offset 0
		.amdhsa_system_sgpr_workgroup_id_x 1
		.amdhsa_system_sgpr_workgroup_id_y 0
		.amdhsa_system_sgpr_workgroup_id_z 0
		.amdhsa_system_sgpr_workgroup_info 0
		.amdhsa_system_vgpr_workitem_id 0
		.amdhsa_next_free_vgpr 9
		.amdhsa_next_free_sgpr 6
		.amdhsa_accum_offset 12
		.amdhsa_reserve_vcc 0
		.amdhsa_reserve_flat_scratch 0
		.amdhsa_float_round_mode_32 0
		.amdhsa_float_round_mode_16_64 0
		.amdhsa_float_denorm_mode_32 3
		.amdhsa_float_denorm_mode_16_64 3
		.amdhsa_dx10_clamp 1
		.amdhsa_ieee_mode 1
		.amdhsa_fp16_overflow 0
		.amdhsa_tg_split 0
		.amdhsa_exception_fp_ieee_invalid_op 0
		.amdhsa_exception_fp_denorm_src 0
		.amdhsa_exception_fp_ieee_div_zero 0
		.amdhsa_exception_fp_ieee_overflow 0
		.amdhsa_exception_fp_ieee_underflow 0
		.amdhsa_exception_fp_ieee_inexact 0
		.amdhsa_exception_int_div_zero 0
	.end_amdhsa_kernel
	.section	.text._Z16warp_load_kernelILj1024ELj4ELj1ELN7rocprim17ROCPRIM_304000_NS16warp_load_methodE0EdEvPT3_S4_,"axG",@progbits,_Z16warp_load_kernelILj1024ELj4ELj1ELN7rocprim17ROCPRIM_304000_NS16warp_load_methodE0EdEvPT3_S4_,comdat
.Lfunc_end7:
	.size	_Z16warp_load_kernelILj1024ELj4ELj1ELN7rocprim17ROCPRIM_304000_NS16warp_load_methodE0EdEvPT3_S4_, .Lfunc_end7-_Z16warp_load_kernelILj1024ELj4ELj1ELN7rocprim17ROCPRIM_304000_NS16warp_load_methodE0EdEvPT3_S4_
                                        ; -- End function
	.section	.AMDGPU.csdata,"",@progbits
; Kernel info:
; codeLenInByte = 60
; NumSgprs: 10
; NumVgprs: 9
; NumAgprs: 0
; TotalNumVgprs: 9
; ScratchSize: 0
; MemoryBound: 1
; FloatMode: 240
; IeeeMode: 1
; LDSByteSize: 0 bytes/workgroup (compile time only)
; SGPRBlocks: 1
; VGPRBlocks: 1
; NumSGPRsForWavesPerEU: 10
; NumVGPRsForWavesPerEU: 9
; AccumOffset: 12
; Occupancy: 8
; WaveLimiterHint : 1
; COMPUTE_PGM_RSRC2:SCRATCH_EN: 0
; COMPUTE_PGM_RSRC2:USER_SGPR: 6
; COMPUTE_PGM_RSRC2:TRAP_HANDLER: 0
; COMPUTE_PGM_RSRC2:TGID_X_EN: 1
; COMPUTE_PGM_RSRC2:TGID_Y_EN: 0
; COMPUTE_PGM_RSRC2:TGID_Z_EN: 0
; COMPUTE_PGM_RSRC2:TIDIG_COMP_CNT: 0
; COMPUTE_PGM_RSRC3_GFX90A:ACCUM_OFFSET: 2
; COMPUTE_PGM_RSRC3_GFX90A:TG_SPLIT: 0
	.section	.text._Z16warp_load_kernelILj1024ELj4ELj1ELN7rocprim17ROCPRIM_304000_NS16warp_load_methodE3EfEvPT3_S4_,"axG",@progbits,_Z16warp_load_kernelILj1024ELj4ELj1ELN7rocprim17ROCPRIM_304000_NS16warp_load_methodE3EfEvPT3_S4_,comdat
	.protected	_Z16warp_load_kernelILj1024ELj4ELj1ELN7rocprim17ROCPRIM_304000_NS16warp_load_methodE3EfEvPT3_S4_ ; -- Begin function _Z16warp_load_kernelILj1024ELj4ELj1ELN7rocprim17ROCPRIM_304000_NS16warp_load_methodE3EfEvPT3_S4_
	.globl	_Z16warp_load_kernelILj1024ELj4ELj1ELN7rocprim17ROCPRIM_304000_NS16warp_load_methodE3EfEvPT3_S4_
	.p2align	8
	.type	_Z16warp_load_kernelILj1024ELj4ELj1ELN7rocprim17ROCPRIM_304000_NS16warp_load_methodE3EfEvPT3_S4_,@function
_Z16warp_load_kernelILj1024ELj4ELj1ELN7rocprim17ROCPRIM_304000_NS16warp_load_methodE3EfEvPT3_S4_: ; @_Z16warp_load_kernelILj1024ELj4ELj1ELN7rocprim17ROCPRIM_304000_NS16warp_load_methodE3EfEvPT3_S4_
; %bb.0:
	s_load_dwordx4 s[0:3], s[4:5], 0x0
	v_lshlrev_b32_e32 v4, 4, v0
	s_waitcnt lgkmcnt(0)
	global_load_dwordx4 v[0:3], v4, s[0:1]
	s_waitcnt vmcnt(0)
	ds_write_b128 v4, v[0:3]
	; wave barrier
	ds_read_b128 v[0:3], v4
	s_waitcnt lgkmcnt(0)
	global_store_dwordx4 v4, v[0:3], s[2:3]
	s_endpgm
	.section	.rodata,"a",@progbits
	.p2align	6, 0x0
	.amdhsa_kernel _Z16warp_load_kernelILj1024ELj4ELj1ELN7rocprim17ROCPRIM_304000_NS16warp_load_methodE3EfEvPT3_S4_
		.amdhsa_group_segment_fixed_size 16384
		.amdhsa_private_segment_fixed_size 0
		.amdhsa_kernarg_size 16
		.amdhsa_user_sgpr_count 6
		.amdhsa_user_sgpr_private_segment_buffer 1
		.amdhsa_user_sgpr_dispatch_ptr 0
		.amdhsa_user_sgpr_queue_ptr 0
		.amdhsa_user_sgpr_kernarg_segment_ptr 1
		.amdhsa_user_sgpr_dispatch_id 0
		.amdhsa_user_sgpr_flat_scratch_init 0
		.amdhsa_user_sgpr_kernarg_preload_length 0
		.amdhsa_user_sgpr_kernarg_preload_offset 0
		.amdhsa_user_sgpr_private_segment_size 0
		.amdhsa_uses_dynamic_stack 0
		.amdhsa_system_sgpr_private_segment_wavefront_offset 0
		.amdhsa_system_sgpr_workgroup_id_x 1
		.amdhsa_system_sgpr_workgroup_id_y 0
		.amdhsa_system_sgpr_workgroup_id_z 0
		.amdhsa_system_sgpr_workgroup_info 0
		.amdhsa_system_vgpr_workitem_id 0
		.amdhsa_next_free_vgpr 5
		.amdhsa_next_free_sgpr 6
		.amdhsa_accum_offset 8
		.amdhsa_reserve_vcc 0
		.amdhsa_reserve_flat_scratch 0
		.amdhsa_float_round_mode_32 0
		.amdhsa_float_round_mode_16_64 0
		.amdhsa_float_denorm_mode_32 3
		.amdhsa_float_denorm_mode_16_64 3
		.amdhsa_dx10_clamp 1
		.amdhsa_ieee_mode 1
		.amdhsa_fp16_overflow 0
		.amdhsa_tg_split 0
		.amdhsa_exception_fp_ieee_invalid_op 0
		.amdhsa_exception_fp_denorm_src 0
		.amdhsa_exception_fp_ieee_div_zero 0
		.amdhsa_exception_fp_ieee_overflow 0
		.amdhsa_exception_fp_ieee_underflow 0
		.amdhsa_exception_fp_ieee_inexact 0
		.amdhsa_exception_int_div_zero 0
	.end_amdhsa_kernel
	.section	.text._Z16warp_load_kernelILj1024ELj4ELj1ELN7rocprim17ROCPRIM_304000_NS16warp_load_methodE3EfEvPT3_S4_,"axG",@progbits,_Z16warp_load_kernelILj1024ELj4ELj1ELN7rocprim17ROCPRIM_304000_NS16warp_load_methodE3EfEvPT3_S4_,comdat
.Lfunc_end8:
	.size	_Z16warp_load_kernelILj1024ELj4ELj1ELN7rocprim17ROCPRIM_304000_NS16warp_load_methodE3EfEvPT3_S4_, .Lfunc_end8-_Z16warp_load_kernelILj1024ELj4ELj1ELN7rocprim17ROCPRIM_304000_NS16warp_load_methodE3EfEvPT3_S4_
                                        ; -- End function
	.section	.AMDGPU.csdata,"",@progbits
; Kernel info:
; codeLenInByte = 60
; NumSgprs: 10
; NumVgprs: 5
; NumAgprs: 0
; TotalNumVgprs: 5
; ScratchSize: 0
; MemoryBound: 0
; FloatMode: 240
; IeeeMode: 1
; LDSByteSize: 16384 bytes/workgroup (compile time only)
; SGPRBlocks: 1
; VGPRBlocks: 0
; NumSGPRsForWavesPerEU: 10
; NumVGPRsForWavesPerEU: 5
; AccumOffset: 8
; Occupancy: 8
; WaveLimiterHint : 0
; COMPUTE_PGM_RSRC2:SCRATCH_EN: 0
; COMPUTE_PGM_RSRC2:USER_SGPR: 6
; COMPUTE_PGM_RSRC2:TRAP_HANDLER: 0
; COMPUTE_PGM_RSRC2:TGID_X_EN: 1
; COMPUTE_PGM_RSRC2:TGID_Y_EN: 0
; COMPUTE_PGM_RSRC2:TGID_Z_EN: 0
; COMPUTE_PGM_RSRC2:TIDIG_COMP_CNT: 0
; COMPUTE_PGM_RSRC3_GFX90A:ACCUM_OFFSET: 1
; COMPUTE_PGM_RSRC3_GFX90A:TG_SPLIT: 0
	.section	.text._Z16warp_load_kernelILj1024ELj4ELj1ELN7rocprim17ROCPRIM_304000_NS16warp_load_methodE2EfEvPT3_S4_,"axG",@progbits,_Z16warp_load_kernelILj1024ELj4ELj1ELN7rocprim17ROCPRIM_304000_NS16warp_load_methodE2EfEvPT3_S4_,comdat
	.protected	_Z16warp_load_kernelILj1024ELj4ELj1ELN7rocprim17ROCPRIM_304000_NS16warp_load_methodE2EfEvPT3_S4_ ; -- Begin function _Z16warp_load_kernelILj1024ELj4ELj1ELN7rocprim17ROCPRIM_304000_NS16warp_load_methodE2EfEvPT3_S4_
	.globl	_Z16warp_load_kernelILj1024ELj4ELj1ELN7rocprim17ROCPRIM_304000_NS16warp_load_methodE2EfEvPT3_S4_
	.p2align	8
	.type	_Z16warp_load_kernelILj1024ELj4ELj1ELN7rocprim17ROCPRIM_304000_NS16warp_load_methodE2EfEvPT3_S4_,@function
_Z16warp_load_kernelILj1024ELj4ELj1ELN7rocprim17ROCPRIM_304000_NS16warp_load_methodE2EfEvPT3_S4_: ; @_Z16warp_load_kernelILj1024ELj4ELj1ELN7rocprim17ROCPRIM_304000_NS16warp_load_methodE2EfEvPT3_S4_
; %bb.0:
	s_load_dwordx4 s[0:3], s[4:5], 0x0
	v_lshlrev_b32_e32 v4, 4, v0
	s_waitcnt lgkmcnt(0)
	global_load_dwordx4 v[0:3], v4, s[0:1]
	s_waitcnt vmcnt(0)
	global_store_dwordx4 v4, v[0:3], s[2:3]
	s_endpgm
	.section	.rodata,"a",@progbits
	.p2align	6, 0x0
	.amdhsa_kernel _Z16warp_load_kernelILj1024ELj4ELj1ELN7rocprim17ROCPRIM_304000_NS16warp_load_methodE2EfEvPT3_S4_
		.amdhsa_group_segment_fixed_size 0
		.amdhsa_private_segment_fixed_size 0
		.amdhsa_kernarg_size 16
		.amdhsa_user_sgpr_count 6
		.amdhsa_user_sgpr_private_segment_buffer 1
		.amdhsa_user_sgpr_dispatch_ptr 0
		.amdhsa_user_sgpr_queue_ptr 0
		.amdhsa_user_sgpr_kernarg_segment_ptr 1
		.amdhsa_user_sgpr_dispatch_id 0
		.amdhsa_user_sgpr_flat_scratch_init 0
		.amdhsa_user_sgpr_kernarg_preload_length 0
		.amdhsa_user_sgpr_kernarg_preload_offset 0
		.amdhsa_user_sgpr_private_segment_size 0
		.amdhsa_uses_dynamic_stack 0
		.amdhsa_system_sgpr_private_segment_wavefront_offset 0
		.amdhsa_system_sgpr_workgroup_id_x 1
		.amdhsa_system_sgpr_workgroup_id_y 0
		.amdhsa_system_sgpr_workgroup_id_z 0
		.amdhsa_system_sgpr_workgroup_info 0
		.amdhsa_system_vgpr_workitem_id 0
		.amdhsa_next_free_vgpr 5
		.amdhsa_next_free_sgpr 6
		.amdhsa_accum_offset 8
		.amdhsa_reserve_vcc 0
		.amdhsa_reserve_flat_scratch 0
		.amdhsa_float_round_mode_32 0
		.amdhsa_float_round_mode_16_64 0
		.amdhsa_float_denorm_mode_32 3
		.amdhsa_float_denorm_mode_16_64 3
		.amdhsa_dx10_clamp 1
		.amdhsa_ieee_mode 1
		.amdhsa_fp16_overflow 0
		.amdhsa_tg_split 0
		.amdhsa_exception_fp_ieee_invalid_op 0
		.amdhsa_exception_fp_denorm_src 0
		.amdhsa_exception_fp_ieee_div_zero 0
		.amdhsa_exception_fp_ieee_overflow 0
		.amdhsa_exception_fp_ieee_underflow 0
		.amdhsa_exception_fp_ieee_inexact 0
		.amdhsa_exception_int_div_zero 0
	.end_amdhsa_kernel
	.section	.text._Z16warp_load_kernelILj1024ELj4ELj1ELN7rocprim17ROCPRIM_304000_NS16warp_load_methodE2EfEvPT3_S4_,"axG",@progbits,_Z16warp_load_kernelILj1024ELj4ELj1ELN7rocprim17ROCPRIM_304000_NS16warp_load_methodE2EfEvPT3_S4_,comdat
.Lfunc_end9:
	.size	_Z16warp_load_kernelILj1024ELj4ELj1ELN7rocprim17ROCPRIM_304000_NS16warp_load_methodE2EfEvPT3_S4_, .Lfunc_end9-_Z16warp_load_kernelILj1024ELj4ELj1ELN7rocprim17ROCPRIM_304000_NS16warp_load_methodE2EfEvPT3_S4_
                                        ; -- End function
	.section	.AMDGPU.csdata,"",@progbits
; Kernel info:
; codeLenInByte = 40
; NumSgprs: 10
; NumVgprs: 5
; NumAgprs: 0
; TotalNumVgprs: 5
; ScratchSize: 0
; MemoryBound: 0
; FloatMode: 240
; IeeeMode: 1
; LDSByteSize: 0 bytes/workgroup (compile time only)
; SGPRBlocks: 1
; VGPRBlocks: 0
; NumSGPRsForWavesPerEU: 10
; NumVGPRsForWavesPerEU: 5
; AccumOffset: 8
; Occupancy: 8
; WaveLimiterHint : 0
; COMPUTE_PGM_RSRC2:SCRATCH_EN: 0
; COMPUTE_PGM_RSRC2:USER_SGPR: 6
; COMPUTE_PGM_RSRC2:TRAP_HANDLER: 0
; COMPUTE_PGM_RSRC2:TGID_X_EN: 1
; COMPUTE_PGM_RSRC2:TGID_Y_EN: 0
; COMPUTE_PGM_RSRC2:TGID_Z_EN: 0
; COMPUTE_PGM_RSRC2:TIDIG_COMP_CNT: 0
; COMPUTE_PGM_RSRC3_GFX90A:ACCUM_OFFSET: 1
; COMPUTE_PGM_RSRC3_GFX90A:TG_SPLIT: 0
	.section	.text._Z16warp_load_kernelILj1024ELj4ELj1ELN7rocprim17ROCPRIM_304000_NS16warp_load_methodE1EfEvPT3_S4_,"axG",@progbits,_Z16warp_load_kernelILj1024ELj4ELj1ELN7rocprim17ROCPRIM_304000_NS16warp_load_methodE1EfEvPT3_S4_,comdat
	.protected	_Z16warp_load_kernelILj1024ELj4ELj1ELN7rocprim17ROCPRIM_304000_NS16warp_load_methodE1EfEvPT3_S4_ ; -- Begin function _Z16warp_load_kernelILj1024ELj4ELj1ELN7rocprim17ROCPRIM_304000_NS16warp_load_methodE1EfEvPT3_S4_
	.globl	_Z16warp_load_kernelILj1024ELj4ELj1ELN7rocprim17ROCPRIM_304000_NS16warp_load_methodE1EfEvPT3_S4_
	.p2align	8
	.type	_Z16warp_load_kernelILj1024ELj4ELj1ELN7rocprim17ROCPRIM_304000_NS16warp_load_methodE1EfEvPT3_S4_,@function
_Z16warp_load_kernelILj1024ELj4ELj1ELN7rocprim17ROCPRIM_304000_NS16warp_load_methodE1EfEvPT3_S4_: ; @_Z16warp_load_kernelILj1024ELj4ELj1ELN7rocprim17ROCPRIM_304000_NS16warp_load_methodE1EfEvPT3_S4_
; %bb.0:
	s_load_dwordx4 s[0:3], s[4:5], 0x0
	v_lshlrev_b32_e32 v4, 4, v0
	s_waitcnt lgkmcnt(0)
	global_load_dwordx4 v[0:3], v4, s[0:1]
	s_waitcnt vmcnt(0)
	global_store_dwordx4 v4, v[0:3], s[2:3]
	s_endpgm
	.section	.rodata,"a",@progbits
	.p2align	6, 0x0
	.amdhsa_kernel _Z16warp_load_kernelILj1024ELj4ELj1ELN7rocprim17ROCPRIM_304000_NS16warp_load_methodE1EfEvPT3_S4_
		.amdhsa_group_segment_fixed_size 0
		.amdhsa_private_segment_fixed_size 0
		.amdhsa_kernarg_size 16
		.amdhsa_user_sgpr_count 6
		.amdhsa_user_sgpr_private_segment_buffer 1
		.amdhsa_user_sgpr_dispatch_ptr 0
		.amdhsa_user_sgpr_queue_ptr 0
		.amdhsa_user_sgpr_kernarg_segment_ptr 1
		.amdhsa_user_sgpr_dispatch_id 0
		.amdhsa_user_sgpr_flat_scratch_init 0
		.amdhsa_user_sgpr_kernarg_preload_length 0
		.amdhsa_user_sgpr_kernarg_preload_offset 0
		.amdhsa_user_sgpr_private_segment_size 0
		.amdhsa_uses_dynamic_stack 0
		.amdhsa_system_sgpr_private_segment_wavefront_offset 0
		.amdhsa_system_sgpr_workgroup_id_x 1
		.amdhsa_system_sgpr_workgroup_id_y 0
		.amdhsa_system_sgpr_workgroup_id_z 0
		.amdhsa_system_sgpr_workgroup_info 0
		.amdhsa_system_vgpr_workitem_id 0
		.amdhsa_next_free_vgpr 5
		.amdhsa_next_free_sgpr 6
		.amdhsa_accum_offset 8
		.amdhsa_reserve_vcc 0
		.amdhsa_reserve_flat_scratch 0
		.amdhsa_float_round_mode_32 0
		.amdhsa_float_round_mode_16_64 0
		.amdhsa_float_denorm_mode_32 3
		.amdhsa_float_denorm_mode_16_64 3
		.amdhsa_dx10_clamp 1
		.amdhsa_ieee_mode 1
		.amdhsa_fp16_overflow 0
		.amdhsa_tg_split 0
		.amdhsa_exception_fp_ieee_invalid_op 0
		.amdhsa_exception_fp_denorm_src 0
		.amdhsa_exception_fp_ieee_div_zero 0
		.amdhsa_exception_fp_ieee_overflow 0
		.amdhsa_exception_fp_ieee_underflow 0
		.amdhsa_exception_fp_ieee_inexact 0
		.amdhsa_exception_int_div_zero 0
	.end_amdhsa_kernel
	.section	.text._Z16warp_load_kernelILj1024ELj4ELj1ELN7rocprim17ROCPRIM_304000_NS16warp_load_methodE1EfEvPT3_S4_,"axG",@progbits,_Z16warp_load_kernelILj1024ELj4ELj1ELN7rocprim17ROCPRIM_304000_NS16warp_load_methodE1EfEvPT3_S4_,comdat
.Lfunc_end10:
	.size	_Z16warp_load_kernelILj1024ELj4ELj1ELN7rocprim17ROCPRIM_304000_NS16warp_load_methodE1EfEvPT3_S4_, .Lfunc_end10-_Z16warp_load_kernelILj1024ELj4ELj1ELN7rocprim17ROCPRIM_304000_NS16warp_load_methodE1EfEvPT3_S4_
                                        ; -- End function
	.section	.AMDGPU.csdata,"",@progbits
; Kernel info:
; codeLenInByte = 40
; NumSgprs: 10
; NumVgprs: 5
; NumAgprs: 0
; TotalNumVgprs: 5
; ScratchSize: 0
; MemoryBound: 0
; FloatMode: 240
; IeeeMode: 1
; LDSByteSize: 0 bytes/workgroup (compile time only)
; SGPRBlocks: 1
; VGPRBlocks: 0
; NumSGPRsForWavesPerEU: 10
; NumVGPRsForWavesPerEU: 5
; AccumOffset: 8
; Occupancy: 8
; WaveLimiterHint : 0
; COMPUTE_PGM_RSRC2:SCRATCH_EN: 0
; COMPUTE_PGM_RSRC2:USER_SGPR: 6
; COMPUTE_PGM_RSRC2:TRAP_HANDLER: 0
; COMPUTE_PGM_RSRC2:TGID_X_EN: 1
; COMPUTE_PGM_RSRC2:TGID_Y_EN: 0
; COMPUTE_PGM_RSRC2:TGID_Z_EN: 0
; COMPUTE_PGM_RSRC2:TIDIG_COMP_CNT: 0
; COMPUTE_PGM_RSRC3_GFX90A:ACCUM_OFFSET: 1
; COMPUTE_PGM_RSRC3_GFX90A:TG_SPLIT: 0
	.section	.text._Z16warp_load_kernelILj1024ELj4ELj1ELN7rocprim17ROCPRIM_304000_NS16warp_load_methodE0EfEvPT3_S4_,"axG",@progbits,_Z16warp_load_kernelILj1024ELj4ELj1ELN7rocprim17ROCPRIM_304000_NS16warp_load_methodE0EfEvPT3_S4_,comdat
	.protected	_Z16warp_load_kernelILj1024ELj4ELj1ELN7rocprim17ROCPRIM_304000_NS16warp_load_methodE0EfEvPT3_S4_ ; -- Begin function _Z16warp_load_kernelILj1024ELj4ELj1ELN7rocprim17ROCPRIM_304000_NS16warp_load_methodE0EfEvPT3_S4_
	.globl	_Z16warp_load_kernelILj1024ELj4ELj1ELN7rocprim17ROCPRIM_304000_NS16warp_load_methodE0EfEvPT3_S4_
	.p2align	8
	.type	_Z16warp_load_kernelILj1024ELj4ELj1ELN7rocprim17ROCPRIM_304000_NS16warp_load_methodE0EfEvPT3_S4_,@function
_Z16warp_load_kernelILj1024ELj4ELj1ELN7rocprim17ROCPRIM_304000_NS16warp_load_methodE0EfEvPT3_S4_: ; @_Z16warp_load_kernelILj1024ELj4ELj1ELN7rocprim17ROCPRIM_304000_NS16warp_load_methodE0EfEvPT3_S4_
; %bb.0:
	s_load_dwordx4 s[0:3], s[4:5], 0x0
	v_lshlrev_b32_e32 v4, 4, v0
	s_waitcnt lgkmcnt(0)
	global_load_dwordx4 v[0:3], v4, s[0:1]
	s_waitcnt vmcnt(0)
	global_store_dwordx4 v4, v[0:3], s[2:3]
	s_endpgm
	.section	.rodata,"a",@progbits
	.p2align	6, 0x0
	.amdhsa_kernel _Z16warp_load_kernelILj1024ELj4ELj1ELN7rocprim17ROCPRIM_304000_NS16warp_load_methodE0EfEvPT3_S4_
		.amdhsa_group_segment_fixed_size 0
		.amdhsa_private_segment_fixed_size 0
		.amdhsa_kernarg_size 16
		.amdhsa_user_sgpr_count 6
		.amdhsa_user_sgpr_private_segment_buffer 1
		.amdhsa_user_sgpr_dispatch_ptr 0
		.amdhsa_user_sgpr_queue_ptr 0
		.amdhsa_user_sgpr_kernarg_segment_ptr 1
		.amdhsa_user_sgpr_dispatch_id 0
		.amdhsa_user_sgpr_flat_scratch_init 0
		.amdhsa_user_sgpr_kernarg_preload_length 0
		.amdhsa_user_sgpr_kernarg_preload_offset 0
		.amdhsa_user_sgpr_private_segment_size 0
		.amdhsa_uses_dynamic_stack 0
		.amdhsa_system_sgpr_private_segment_wavefront_offset 0
		.amdhsa_system_sgpr_workgroup_id_x 1
		.amdhsa_system_sgpr_workgroup_id_y 0
		.amdhsa_system_sgpr_workgroup_id_z 0
		.amdhsa_system_sgpr_workgroup_info 0
		.amdhsa_system_vgpr_workitem_id 0
		.amdhsa_next_free_vgpr 5
		.amdhsa_next_free_sgpr 6
		.amdhsa_accum_offset 8
		.amdhsa_reserve_vcc 0
		.amdhsa_reserve_flat_scratch 0
		.amdhsa_float_round_mode_32 0
		.amdhsa_float_round_mode_16_64 0
		.amdhsa_float_denorm_mode_32 3
		.amdhsa_float_denorm_mode_16_64 3
		.amdhsa_dx10_clamp 1
		.amdhsa_ieee_mode 1
		.amdhsa_fp16_overflow 0
		.amdhsa_tg_split 0
		.amdhsa_exception_fp_ieee_invalid_op 0
		.amdhsa_exception_fp_denorm_src 0
		.amdhsa_exception_fp_ieee_div_zero 0
		.amdhsa_exception_fp_ieee_overflow 0
		.amdhsa_exception_fp_ieee_underflow 0
		.amdhsa_exception_fp_ieee_inexact 0
		.amdhsa_exception_int_div_zero 0
	.end_amdhsa_kernel
	.section	.text._Z16warp_load_kernelILj1024ELj4ELj1ELN7rocprim17ROCPRIM_304000_NS16warp_load_methodE0EfEvPT3_S4_,"axG",@progbits,_Z16warp_load_kernelILj1024ELj4ELj1ELN7rocprim17ROCPRIM_304000_NS16warp_load_methodE0EfEvPT3_S4_,comdat
.Lfunc_end11:
	.size	_Z16warp_load_kernelILj1024ELj4ELj1ELN7rocprim17ROCPRIM_304000_NS16warp_load_methodE0EfEvPT3_S4_, .Lfunc_end11-_Z16warp_load_kernelILj1024ELj4ELj1ELN7rocprim17ROCPRIM_304000_NS16warp_load_methodE0EfEvPT3_S4_
                                        ; -- End function
	.section	.AMDGPU.csdata,"",@progbits
; Kernel info:
; codeLenInByte = 40
; NumSgprs: 10
; NumVgprs: 5
; NumAgprs: 0
; TotalNumVgprs: 5
; ScratchSize: 0
; MemoryBound: 0
; FloatMode: 240
; IeeeMode: 1
; LDSByteSize: 0 bytes/workgroup (compile time only)
; SGPRBlocks: 1
; VGPRBlocks: 0
; NumSGPRsForWavesPerEU: 10
; NumVGPRsForWavesPerEU: 5
; AccumOffset: 8
; Occupancy: 8
; WaveLimiterHint : 0
; COMPUTE_PGM_RSRC2:SCRATCH_EN: 0
; COMPUTE_PGM_RSRC2:USER_SGPR: 6
; COMPUTE_PGM_RSRC2:TRAP_HANDLER: 0
; COMPUTE_PGM_RSRC2:TGID_X_EN: 1
; COMPUTE_PGM_RSRC2:TGID_Y_EN: 0
; COMPUTE_PGM_RSRC2:TGID_Z_EN: 0
; COMPUTE_PGM_RSRC2:TIDIG_COMP_CNT: 0
; COMPUTE_PGM_RSRC3_GFX90A:ACCUM_OFFSET: 1
; COMPUTE_PGM_RSRC3_GFX90A:TG_SPLIT: 0
	.section	.text._Z16warp_load_kernelILj1024ELj4ELj1ELN7rocprim17ROCPRIM_304000_NS16warp_load_methodE3EhEvPT3_S4_,"axG",@progbits,_Z16warp_load_kernelILj1024ELj4ELj1ELN7rocprim17ROCPRIM_304000_NS16warp_load_methodE3EhEvPT3_S4_,comdat
	.protected	_Z16warp_load_kernelILj1024ELj4ELj1ELN7rocprim17ROCPRIM_304000_NS16warp_load_methodE3EhEvPT3_S4_ ; -- Begin function _Z16warp_load_kernelILj1024ELj4ELj1ELN7rocprim17ROCPRIM_304000_NS16warp_load_methodE3EhEvPT3_S4_
	.globl	_Z16warp_load_kernelILj1024ELj4ELj1ELN7rocprim17ROCPRIM_304000_NS16warp_load_methodE3EhEvPT3_S4_
	.p2align	8
	.type	_Z16warp_load_kernelILj1024ELj4ELj1ELN7rocprim17ROCPRIM_304000_NS16warp_load_methodE3EhEvPT3_S4_,@function
_Z16warp_load_kernelILj1024ELj4ELj1ELN7rocprim17ROCPRIM_304000_NS16warp_load_methodE3EhEvPT3_S4_: ; @_Z16warp_load_kernelILj1024ELj4ELj1ELN7rocprim17ROCPRIM_304000_NS16warp_load_methodE3EhEvPT3_S4_
; %bb.0:
	s_load_dwordx4 s[0:3], s[4:5], 0x0
	v_lshlrev_b32_e32 v0, 2, v0
	s_waitcnt lgkmcnt(0)
	global_load_dword v1, v0, s[0:1]
	s_waitcnt vmcnt(0)
	ds_write_b32 v0, v1
	; wave barrier
	ds_read_b32 v1, v0
	s_waitcnt lgkmcnt(0)
	global_store_dword v0, v1, s[2:3]
	s_endpgm
	.section	.rodata,"a",@progbits
	.p2align	6, 0x0
	.amdhsa_kernel _Z16warp_load_kernelILj1024ELj4ELj1ELN7rocprim17ROCPRIM_304000_NS16warp_load_methodE3EhEvPT3_S4_
		.amdhsa_group_segment_fixed_size 4096
		.amdhsa_private_segment_fixed_size 0
		.amdhsa_kernarg_size 16
		.amdhsa_user_sgpr_count 6
		.amdhsa_user_sgpr_private_segment_buffer 1
		.amdhsa_user_sgpr_dispatch_ptr 0
		.amdhsa_user_sgpr_queue_ptr 0
		.amdhsa_user_sgpr_kernarg_segment_ptr 1
		.amdhsa_user_sgpr_dispatch_id 0
		.amdhsa_user_sgpr_flat_scratch_init 0
		.amdhsa_user_sgpr_kernarg_preload_length 0
		.amdhsa_user_sgpr_kernarg_preload_offset 0
		.amdhsa_user_sgpr_private_segment_size 0
		.amdhsa_uses_dynamic_stack 0
		.amdhsa_system_sgpr_private_segment_wavefront_offset 0
		.amdhsa_system_sgpr_workgroup_id_x 1
		.amdhsa_system_sgpr_workgroup_id_y 0
		.amdhsa_system_sgpr_workgroup_id_z 0
		.amdhsa_system_sgpr_workgroup_info 0
		.amdhsa_system_vgpr_workitem_id 0
		.amdhsa_next_free_vgpr 2
		.amdhsa_next_free_sgpr 6
		.amdhsa_accum_offset 4
		.amdhsa_reserve_vcc 0
		.amdhsa_reserve_flat_scratch 0
		.amdhsa_float_round_mode_32 0
		.amdhsa_float_round_mode_16_64 0
		.amdhsa_float_denorm_mode_32 3
		.amdhsa_float_denorm_mode_16_64 3
		.amdhsa_dx10_clamp 1
		.amdhsa_ieee_mode 1
		.amdhsa_fp16_overflow 0
		.amdhsa_tg_split 0
		.amdhsa_exception_fp_ieee_invalid_op 0
		.amdhsa_exception_fp_denorm_src 0
		.amdhsa_exception_fp_ieee_div_zero 0
		.amdhsa_exception_fp_ieee_overflow 0
		.amdhsa_exception_fp_ieee_underflow 0
		.amdhsa_exception_fp_ieee_inexact 0
		.amdhsa_exception_int_div_zero 0
	.end_amdhsa_kernel
	.section	.text._Z16warp_load_kernelILj1024ELj4ELj1ELN7rocprim17ROCPRIM_304000_NS16warp_load_methodE3EhEvPT3_S4_,"axG",@progbits,_Z16warp_load_kernelILj1024ELj4ELj1ELN7rocprim17ROCPRIM_304000_NS16warp_load_methodE3EhEvPT3_S4_,comdat
.Lfunc_end12:
	.size	_Z16warp_load_kernelILj1024ELj4ELj1ELN7rocprim17ROCPRIM_304000_NS16warp_load_methodE3EhEvPT3_S4_, .Lfunc_end12-_Z16warp_load_kernelILj1024ELj4ELj1ELN7rocprim17ROCPRIM_304000_NS16warp_load_methodE3EhEvPT3_S4_
                                        ; -- End function
	.section	.AMDGPU.csdata,"",@progbits
; Kernel info:
; codeLenInByte = 60
; NumSgprs: 10
; NumVgprs: 2
; NumAgprs: 0
; TotalNumVgprs: 2
; ScratchSize: 0
; MemoryBound: 0
; FloatMode: 240
; IeeeMode: 1
; LDSByteSize: 4096 bytes/workgroup (compile time only)
; SGPRBlocks: 1
; VGPRBlocks: 0
; NumSGPRsForWavesPerEU: 10
; NumVGPRsForWavesPerEU: 2
; AccumOffset: 4
; Occupancy: 8
; WaveLimiterHint : 0
; COMPUTE_PGM_RSRC2:SCRATCH_EN: 0
; COMPUTE_PGM_RSRC2:USER_SGPR: 6
; COMPUTE_PGM_RSRC2:TRAP_HANDLER: 0
; COMPUTE_PGM_RSRC2:TGID_X_EN: 1
; COMPUTE_PGM_RSRC2:TGID_Y_EN: 0
; COMPUTE_PGM_RSRC2:TGID_Z_EN: 0
; COMPUTE_PGM_RSRC2:TIDIG_COMP_CNT: 0
; COMPUTE_PGM_RSRC3_GFX90A:ACCUM_OFFSET: 0
; COMPUTE_PGM_RSRC3_GFX90A:TG_SPLIT: 0
	.section	.text._Z16warp_load_kernelILj1024ELj4ELj1ELN7rocprim17ROCPRIM_304000_NS16warp_load_methodE2EhEvPT3_S4_,"axG",@progbits,_Z16warp_load_kernelILj1024ELj4ELj1ELN7rocprim17ROCPRIM_304000_NS16warp_load_methodE2EhEvPT3_S4_,comdat
	.protected	_Z16warp_load_kernelILj1024ELj4ELj1ELN7rocprim17ROCPRIM_304000_NS16warp_load_methodE2EhEvPT3_S4_ ; -- Begin function _Z16warp_load_kernelILj1024ELj4ELj1ELN7rocprim17ROCPRIM_304000_NS16warp_load_methodE2EhEvPT3_S4_
	.globl	_Z16warp_load_kernelILj1024ELj4ELj1ELN7rocprim17ROCPRIM_304000_NS16warp_load_methodE2EhEvPT3_S4_
	.p2align	8
	.type	_Z16warp_load_kernelILj1024ELj4ELj1ELN7rocprim17ROCPRIM_304000_NS16warp_load_methodE2EhEvPT3_S4_,@function
_Z16warp_load_kernelILj1024ELj4ELj1ELN7rocprim17ROCPRIM_304000_NS16warp_load_methodE2EhEvPT3_S4_: ; @_Z16warp_load_kernelILj1024ELj4ELj1ELN7rocprim17ROCPRIM_304000_NS16warp_load_methodE2EhEvPT3_S4_
; %bb.0:
	s_load_dwordx4 s[0:3], s[4:5], 0x0
	v_lshlrev_b32_e32 v0, 2, v0
	s_waitcnt lgkmcnt(0)
	global_load_dword v1, v0, s[0:1]
	s_waitcnt vmcnt(0)
	global_store_dword v0, v1, s[2:3]
	s_endpgm
	.section	.rodata,"a",@progbits
	.p2align	6, 0x0
	.amdhsa_kernel _Z16warp_load_kernelILj1024ELj4ELj1ELN7rocprim17ROCPRIM_304000_NS16warp_load_methodE2EhEvPT3_S4_
		.amdhsa_group_segment_fixed_size 0
		.amdhsa_private_segment_fixed_size 0
		.amdhsa_kernarg_size 16
		.amdhsa_user_sgpr_count 6
		.amdhsa_user_sgpr_private_segment_buffer 1
		.amdhsa_user_sgpr_dispatch_ptr 0
		.amdhsa_user_sgpr_queue_ptr 0
		.amdhsa_user_sgpr_kernarg_segment_ptr 1
		.amdhsa_user_sgpr_dispatch_id 0
		.amdhsa_user_sgpr_flat_scratch_init 0
		.amdhsa_user_sgpr_kernarg_preload_length 0
		.amdhsa_user_sgpr_kernarg_preload_offset 0
		.amdhsa_user_sgpr_private_segment_size 0
		.amdhsa_uses_dynamic_stack 0
		.amdhsa_system_sgpr_private_segment_wavefront_offset 0
		.amdhsa_system_sgpr_workgroup_id_x 1
		.amdhsa_system_sgpr_workgroup_id_y 0
		.amdhsa_system_sgpr_workgroup_id_z 0
		.amdhsa_system_sgpr_workgroup_info 0
		.amdhsa_system_vgpr_workitem_id 0
		.amdhsa_next_free_vgpr 2
		.amdhsa_next_free_sgpr 6
		.amdhsa_accum_offset 4
		.amdhsa_reserve_vcc 0
		.amdhsa_reserve_flat_scratch 0
		.amdhsa_float_round_mode_32 0
		.amdhsa_float_round_mode_16_64 0
		.amdhsa_float_denorm_mode_32 3
		.amdhsa_float_denorm_mode_16_64 3
		.amdhsa_dx10_clamp 1
		.amdhsa_ieee_mode 1
		.amdhsa_fp16_overflow 0
		.amdhsa_tg_split 0
		.amdhsa_exception_fp_ieee_invalid_op 0
		.amdhsa_exception_fp_denorm_src 0
		.amdhsa_exception_fp_ieee_div_zero 0
		.amdhsa_exception_fp_ieee_overflow 0
		.amdhsa_exception_fp_ieee_underflow 0
		.amdhsa_exception_fp_ieee_inexact 0
		.amdhsa_exception_int_div_zero 0
	.end_amdhsa_kernel
	.section	.text._Z16warp_load_kernelILj1024ELj4ELj1ELN7rocprim17ROCPRIM_304000_NS16warp_load_methodE2EhEvPT3_S4_,"axG",@progbits,_Z16warp_load_kernelILj1024ELj4ELj1ELN7rocprim17ROCPRIM_304000_NS16warp_load_methodE2EhEvPT3_S4_,comdat
.Lfunc_end13:
	.size	_Z16warp_load_kernelILj1024ELj4ELj1ELN7rocprim17ROCPRIM_304000_NS16warp_load_methodE2EhEvPT3_S4_, .Lfunc_end13-_Z16warp_load_kernelILj1024ELj4ELj1ELN7rocprim17ROCPRIM_304000_NS16warp_load_methodE2EhEvPT3_S4_
                                        ; -- End function
	.section	.AMDGPU.csdata,"",@progbits
; Kernel info:
; codeLenInByte = 40
; NumSgprs: 10
; NumVgprs: 2
; NumAgprs: 0
; TotalNumVgprs: 2
; ScratchSize: 0
; MemoryBound: 0
; FloatMode: 240
; IeeeMode: 1
; LDSByteSize: 0 bytes/workgroup (compile time only)
; SGPRBlocks: 1
; VGPRBlocks: 0
; NumSGPRsForWavesPerEU: 10
; NumVGPRsForWavesPerEU: 2
; AccumOffset: 4
; Occupancy: 8
; WaveLimiterHint : 0
; COMPUTE_PGM_RSRC2:SCRATCH_EN: 0
; COMPUTE_PGM_RSRC2:USER_SGPR: 6
; COMPUTE_PGM_RSRC2:TRAP_HANDLER: 0
; COMPUTE_PGM_RSRC2:TGID_X_EN: 1
; COMPUTE_PGM_RSRC2:TGID_Y_EN: 0
; COMPUTE_PGM_RSRC2:TGID_Z_EN: 0
; COMPUTE_PGM_RSRC2:TIDIG_COMP_CNT: 0
; COMPUTE_PGM_RSRC3_GFX90A:ACCUM_OFFSET: 0
; COMPUTE_PGM_RSRC3_GFX90A:TG_SPLIT: 0
	.section	.text._Z16warp_load_kernelILj1024ELj4ELj1ELN7rocprim17ROCPRIM_304000_NS16warp_load_methodE1EhEvPT3_S4_,"axG",@progbits,_Z16warp_load_kernelILj1024ELj4ELj1ELN7rocprim17ROCPRIM_304000_NS16warp_load_methodE1EhEvPT3_S4_,comdat
	.protected	_Z16warp_load_kernelILj1024ELj4ELj1ELN7rocprim17ROCPRIM_304000_NS16warp_load_methodE1EhEvPT3_S4_ ; -- Begin function _Z16warp_load_kernelILj1024ELj4ELj1ELN7rocprim17ROCPRIM_304000_NS16warp_load_methodE1EhEvPT3_S4_
	.globl	_Z16warp_load_kernelILj1024ELj4ELj1ELN7rocprim17ROCPRIM_304000_NS16warp_load_methodE1EhEvPT3_S4_
	.p2align	8
	.type	_Z16warp_load_kernelILj1024ELj4ELj1ELN7rocprim17ROCPRIM_304000_NS16warp_load_methodE1EhEvPT3_S4_,@function
_Z16warp_load_kernelILj1024ELj4ELj1ELN7rocprim17ROCPRIM_304000_NS16warp_load_methodE1EhEvPT3_S4_: ; @_Z16warp_load_kernelILj1024ELj4ELj1ELN7rocprim17ROCPRIM_304000_NS16warp_load_methodE1EhEvPT3_S4_
; %bb.0:
	s_load_dwordx4 s[0:3], s[4:5], 0x0
	v_lshlrev_b32_e32 v0, 2, v0
	s_waitcnt lgkmcnt(0)
	global_load_dword v1, v0, s[0:1]
	s_waitcnt vmcnt(0)
	global_store_dword v0, v1, s[2:3]
	s_endpgm
	.section	.rodata,"a",@progbits
	.p2align	6, 0x0
	.amdhsa_kernel _Z16warp_load_kernelILj1024ELj4ELj1ELN7rocprim17ROCPRIM_304000_NS16warp_load_methodE1EhEvPT3_S4_
		.amdhsa_group_segment_fixed_size 0
		.amdhsa_private_segment_fixed_size 0
		.amdhsa_kernarg_size 16
		.amdhsa_user_sgpr_count 6
		.amdhsa_user_sgpr_private_segment_buffer 1
		.amdhsa_user_sgpr_dispatch_ptr 0
		.amdhsa_user_sgpr_queue_ptr 0
		.amdhsa_user_sgpr_kernarg_segment_ptr 1
		.amdhsa_user_sgpr_dispatch_id 0
		.amdhsa_user_sgpr_flat_scratch_init 0
		.amdhsa_user_sgpr_kernarg_preload_length 0
		.amdhsa_user_sgpr_kernarg_preload_offset 0
		.amdhsa_user_sgpr_private_segment_size 0
		.amdhsa_uses_dynamic_stack 0
		.amdhsa_system_sgpr_private_segment_wavefront_offset 0
		.amdhsa_system_sgpr_workgroup_id_x 1
		.amdhsa_system_sgpr_workgroup_id_y 0
		.amdhsa_system_sgpr_workgroup_id_z 0
		.amdhsa_system_sgpr_workgroup_info 0
		.amdhsa_system_vgpr_workitem_id 0
		.amdhsa_next_free_vgpr 2
		.amdhsa_next_free_sgpr 6
		.amdhsa_accum_offset 4
		.amdhsa_reserve_vcc 0
		.amdhsa_reserve_flat_scratch 0
		.amdhsa_float_round_mode_32 0
		.amdhsa_float_round_mode_16_64 0
		.amdhsa_float_denorm_mode_32 3
		.amdhsa_float_denorm_mode_16_64 3
		.amdhsa_dx10_clamp 1
		.amdhsa_ieee_mode 1
		.amdhsa_fp16_overflow 0
		.amdhsa_tg_split 0
		.amdhsa_exception_fp_ieee_invalid_op 0
		.amdhsa_exception_fp_denorm_src 0
		.amdhsa_exception_fp_ieee_div_zero 0
		.amdhsa_exception_fp_ieee_overflow 0
		.amdhsa_exception_fp_ieee_underflow 0
		.amdhsa_exception_fp_ieee_inexact 0
		.amdhsa_exception_int_div_zero 0
	.end_amdhsa_kernel
	.section	.text._Z16warp_load_kernelILj1024ELj4ELj1ELN7rocprim17ROCPRIM_304000_NS16warp_load_methodE1EhEvPT3_S4_,"axG",@progbits,_Z16warp_load_kernelILj1024ELj4ELj1ELN7rocprim17ROCPRIM_304000_NS16warp_load_methodE1EhEvPT3_S4_,comdat
.Lfunc_end14:
	.size	_Z16warp_load_kernelILj1024ELj4ELj1ELN7rocprim17ROCPRIM_304000_NS16warp_load_methodE1EhEvPT3_S4_, .Lfunc_end14-_Z16warp_load_kernelILj1024ELj4ELj1ELN7rocprim17ROCPRIM_304000_NS16warp_load_methodE1EhEvPT3_S4_
                                        ; -- End function
	.section	.AMDGPU.csdata,"",@progbits
; Kernel info:
; codeLenInByte = 40
; NumSgprs: 10
; NumVgprs: 2
; NumAgprs: 0
; TotalNumVgprs: 2
; ScratchSize: 0
; MemoryBound: 0
; FloatMode: 240
; IeeeMode: 1
; LDSByteSize: 0 bytes/workgroup (compile time only)
; SGPRBlocks: 1
; VGPRBlocks: 0
; NumSGPRsForWavesPerEU: 10
; NumVGPRsForWavesPerEU: 2
; AccumOffset: 4
; Occupancy: 8
; WaveLimiterHint : 0
; COMPUTE_PGM_RSRC2:SCRATCH_EN: 0
; COMPUTE_PGM_RSRC2:USER_SGPR: 6
; COMPUTE_PGM_RSRC2:TRAP_HANDLER: 0
; COMPUTE_PGM_RSRC2:TGID_X_EN: 1
; COMPUTE_PGM_RSRC2:TGID_Y_EN: 0
; COMPUTE_PGM_RSRC2:TGID_Z_EN: 0
; COMPUTE_PGM_RSRC2:TIDIG_COMP_CNT: 0
; COMPUTE_PGM_RSRC3_GFX90A:ACCUM_OFFSET: 0
; COMPUTE_PGM_RSRC3_GFX90A:TG_SPLIT: 0
	.section	.text._Z16warp_load_kernelILj1024ELj4ELj1ELN7rocprim17ROCPRIM_304000_NS16warp_load_methodE0EhEvPT3_S4_,"axG",@progbits,_Z16warp_load_kernelILj1024ELj4ELj1ELN7rocprim17ROCPRIM_304000_NS16warp_load_methodE0EhEvPT3_S4_,comdat
	.protected	_Z16warp_load_kernelILj1024ELj4ELj1ELN7rocprim17ROCPRIM_304000_NS16warp_load_methodE0EhEvPT3_S4_ ; -- Begin function _Z16warp_load_kernelILj1024ELj4ELj1ELN7rocprim17ROCPRIM_304000_NS16warp_load_methodE0EhEvPT3_S4_
	.globl	_Z16warp_load_kernelILj1024ELj4ELj1ELN7rocprim17ROCPRIM_304000_NS16warp_load_methodE0EhEvPT3_S4_
	.p2align	8
	.type	_Z16warp_load_kernelILj1024ELj4ELj1ELN7rocprim17ROCPRIM_304000_NS16warp_load_methodE0EhEvPT3_S4_,@function
_Z16warp_load_kernelILj1024ELj4ELj1ELN7rocprim17ROCPRIM_304000_NS16warp_load_methodE0EhEvPT3_S4_: ; @_Z16warp_load_kernelILj1024ELj4ELj1ELN7rocprim17ROCPRIM_304000_NS16warp_load_methodE0EhEvPT3_S4_
; %bb.0:
	s_load_dwordx4 s[0:3], s[4:5], 0x0
	v_lshlrev_b32_e32 v0, 2, v0
	s_waitcnt lgkmcnt(0)
	global_load_dword v1, v0, s[0:1]
	s_waitcnt vmcnt(0)
	global_store_dword v0, v1, s[2:3]
	s_endpgm
	.section	.rodata,"a",@progbits
	.p2align	6, 0x0
	.amdhsa_kernel _Z16warp_load_kernelILj1024ELj4ELj1ELN7rocprim17ROCPRIM_304000_NS16warp_load_methodE0EhEvPT3_S4_
		.amdhsa_group_segment_fixed_size 0
		.amdhsa_private_segment_fixed_size 0
		.amdhsa_kernarg_size 16
		.amdhsa_user_sgpr_count 6
		.amdhsa_user_sgpr_private_segment_buffer 1
		.amdhsa_user_sgpr_dispatch_ptr 0
		.amdhsa_user_sgpr_queue_ptr 0
		.amdhsa_user_sgpr_kernarg_segment_ptr 1
		.amdhsa_user_sgpr_dispatch_id 0
		.amdhsa_user_sgpr_flat_scratch_init 0
		.amdhsa_user_sgpr_kernarg_preload_length 0
		.amdhsa_user_sgpr_kernarg_preload_offset 0
		.amdhsa_user_sgpr_private_segment_size 0
		.amdhsa_uses_dynamic_stack 0
		.amdhsa_system_sgpr_private_segment_wavefront_offset 0
		.amdhsa_system_sgpr_workgroup_id_x 1
		.amdhsa_system_sgpr_workgroup_id_y 0
		.amdhsa_system_sgpr_workgroup_id_z 0
		.amdhsa_system_sgpr_workgroup_info 0
		.amdhsa_system_vgpr_workitem_id 0
		.amdhsa_next_free_vgpr 2
		.amdhsa_next_free_sgpr 6
		.amdhsa_accum_offset 4
		.amdhsa_reserve_vcc 0
		.amdhsa_reserve_flat_scratch 0
		.amdhsa_float_round_mode_32 0
		.amdhsa_float_round_mode_16_64 0
		.amdhsa_float_denorm_mode_32 3
		.amdhsa_float_denorm_mode_16_64 3
		.amdhsa_dx10_clamp 1
		.amdhsa_ieee_mode 1
		.amdhsa_fp16_overflow 0
		.amdhsa_tg_split 0
		.amdhsa_exception_fp_ieee_invalid_op 0
		.amdhsa_exception_fp_denorm_src 0
		.amdhsa_exception_fp_ieee_div_zero 0
		.amdhsa_exception_fp_ieee_overflow 0
		.amdhsa_exception_fp_ieee_underflow 0
		.amdhsa_exception_fp_ieee_inexact 0
		.amdhsa_exception_int_div_zero 0
	.end_amdhsa_kernel
	.section	.text._Z16warp_load_kernelILj1024ELj4ELj1ELN7rocprim17ROCPRIM_304000_NS16warp_load_methodE0EhEvPT3_S4_,"axG",@progbits,_Z16warp_load_kernelILj1024ELj4ELj1ELN7rocprim17ROCPRIM_304000_NS16warp_load_methodE0EhEvPT3_S4_,comdat
.Lfunc_end15:
	.size	_Z16warp_load_kernelILj1024ELj4ELj1ELN7rocprim17ROCPRIM_304000_NS16warp_load_methodE0EhEvPT3_S4_, .Lfunc_end15-_Z16warp_load_kernelILj1024ELj4ELj1ELN7rocprim17ROCPRIM_304000_NS16warp_load_methodE0EhEvPT3_S4_
                                        ; -- End function
	.section	.AMDGPU.csdata,"",@progbits
; Kernel info:
; codeLenInByte = 40
; NumSgprs: 10
; NumVgprs: 2
; NumAgprs: 0
; TotalNumVgprs: 2
; ScratchSize: 0
; MemoryBound: 0
; FloatMode: 240
; IeeeMode: 1
; LDSByteSize: 0 bytes/workgroup (compile time only)
; SGPRBlocks: 1
; VGPRBlocks: 0
; NumSGPRsForWavesPerEU: 10
; NumVGPRsForWavesPerEU: 2
; AccumOffset: 4
; Occupancy: 8
; WaveLimiterHint : 0
; COMPUTE_PGM_RSRC2:SCRATCH_EN: 0
; COMPUTE_PGM_RSRC2:USER_SGPR: 6
; COMPUTE_PGM_RSRC2:TRAP_HANDLER: 0
; COMPUTE_PGM_RSRC2:TGID_X_EN: 1
; COMPUTE_PGM_RSRC2:TGID_Y_EN: 0
; COMPUTE_PGM_RSRC2:TGID_Z_EN: 0
; COMPUTE_PGM_RSRC2:TIDIG_COMP_CNT: 0
; COMPUTE_PGM_RSRC3_GFX90A:ACCUM_OFFSET: 0
; COMPUTE_PGM_RSRC3_GFX90A:TG_SPLIT: 0
	.section	.text._Z16warp_load_kernelILj1024ELj4ELj1ELN7rocprim17ROCPRIM_304000_NS16warp_load_methodE3EaEvPT3_S4_,"axG",@progbits,_Z16warp_load_kernelILj1024ELj4ELj1ELN7rocprim17ROCPRIM_304000_NS16warp_load_methodE3EaEvPT3_S4_,comdat
	.protected	_Z16warp_load_kernelILj1024ELj4ELj1ELN7rocprim17ROCPRIM_304000_NS16warp_load_methodE3EaEvPT3_S4_ ; -- Begin function _Z16warp_load_kernelILj1024ELj4ELj1ELN7rocprim17ROCPRIM_304000_NS16warp_load_methodE3EaEvPT3_S4_
	.globl	_Z16warp_load_kernelILj1024ELj4ELj1ELN7rocprim17ROCPRIM_304000_NS16warp_load_methodE3EaEvPT3_S4_
	.p2align	8
	.type	_Z16warp_load_kernelILj1024ELj4ELj1ELN7rocprim17ROCPRIM_304000_NS16warp_load_methodE3EaEvPT3_S4_,@function
_Z16warp_load_kernelILj1024ELj4ELj1ELN7rocprim17ROCPRIM_304000_NS16warp_load_methodE3EaEvPT3_S4_: ; @_Z16warp_load_kernelILj1024ELj4ELj1ELN7rocprim17ROCPRIM_304000_NS16warp_load_methodE3EaEvPT3_S4_
; %bb.0:
	s_load_dwordx4 s[0:3], s[4:5], 0x0
	v_lshlrev_b32_e32 v0, 2, v0
	s_waitcnt lgkmcnt(0)
	global_load_dword v1, v0, s[0:1]
	s_waitcnt vmcnt(0)
	ds_write_b32 v0, v1
	; wave barrier
	ds_read_b32 v1, v0
	s_waitcnt lgkmcnt(0)
	global_store_dword v0, v1, s[2:3]
	s_endpgm
	.section	.rodata,"a",@progbits
	.p2align	6, 0x0
	.amdhsa_kernel _Z16warp_load_kernelILj1024ELj4ELj1ELN7rocprim17ROCPRIM_304000_NS16warp_load_methodE3EaEvPT3_S4_
		.amdhsa_group_segment_fixed_size 4096
		.amdhsa_private_segment_fixed_size 0
		.amdhsa_kernarg_size 16
		.amdhsa_user_sgpr_count 6
		.amdhsa_user_sgpr_private_segment_buffer 1
		.amdhsa_user_sgpr_dispatch_ptr 0
		.amdhsa_user_sgpr_queue_ptr 0
		.amdhsa_user_sgpr_kernarg_segment_ptr 1
		.amdhsa_user_sgpr_dispatch_id 0
		.amdhsa_user_sgpr_flat_scratch_init 0
		.amdhsa_user_sgpr_kernarg_preload_length 0
		.amdhsa_user_sgpr_kernarg_preload_offset 0
		.amdhsa_user_sgpr_private_segment_size 0
		.amdhsa_uses_dynamic_stack 0
		.amdhsa_system_sgpr_private_segment_wavefront_offset 0
		.amdhsa_system_sgpr_workgroup_id_x 1
		.amdhsa_system_sgpr_workgroup_id_y 0
		.amdhsa_system_sgpr_workgroup_id_z 0
		.amdhsa_system_sgpr_workgroup_info 0
		.amdhsa_system_vgpr_workitem_id 0
		.amdhsa_next_free_vgpr 2
		.amdhsa_next_free_sgpr 6
		.amdhsa_accum_offset 4
		.amdhsa_reserve_vcc 0
		.amdhsa_reserve_flat_scratch 0
		.amdhsa_float_round_mode_32 0
		.amdhsa_float_round_mode_16_64 0
		.amdhsa_float_denorm_mode_32 3
		.amdhsa_float_denorm_mode_16_64 3
		.amdhsa_dx10_clamp 1
		.amdhsa_ieee_mode 1
		.amdhsa_fp16_overflow 0
		.amdhsa_tg_split 0
		.amdhsa_exception_fp_ieee_invalid_op 0
		.amdhsa_exception_fp_denorm_src 0
		.amdhsa_exception_fp_ieee_div_zero 0
		.amdhsa_exception_fp_ieee_overflow 0
		.amdhsa_exception_fp_ieee_underflow 0
		.amdhsa_exception_fp_ieee_inexact 0
		.amdhsa_exception_int_div_zero 0
	.end_amdhsa_kernel
	.section	.text._Z16warp_load_kernelILj1024ELj4ELj1ELN7rocprim17ROCPRIM_304000_NS16warp_load_methodE3EaEvPT3_S4_,"axG",@progbits,_Z16warp_load_kernelILj1024ELj4ELj1ELN7rocprim17ROCPRIM_304000_NS16warp_load_methodE3EaEvPT3_S4_,comdat
.Lfunc_end16:
	.size	_Z16warp_load_kernelILj1024ELj4ELj1ELN7rocprim17ROCPRIM_304000_NS16warp_load_methodE3EaEvPT3_S4_, .Lfunc_end16-_Z16warp_load_kernelILj1024ELj4ELj1ELN7rocprim17ROCPRIM_304000_NS16warp_load_methodE3EaEvPT3_S4_
                                        ; -- End function
	.section	.AMDGPU.csdata,"",@progbits
; Kernel info:
; codeLenInByte = 60
; NumSgprs: 10
; NumVgprs: 2
; NumAgprs: 0
; TotalNumVgprs: 2
; ScratchSize: 0
; MemoryBound: 0
; FloatMode: 240
; IeeeMode: 1
; LDSByteSize: 4096 bytes/workgroup (compile time only)
; SGPRBlocks: 1
; VGPRBlocks: 0
; NumSGPRsForWavesPerEU: 10
; NumVGPRsForWavesPerEU: 2
; AccumOffset: 4
; Occupancy: 8
; WaveLimiterHint : 0
; COMPUTE_PGM_RSRC2:SCRATCH_EN: 0
; COMPUTE_PGM_RSRC2:USER_SGPR: 6
; COMPUTE_PGM_RSRC2:TRAP_HANDLER: 0
; COMPUTE_PGM_RSRC2:TGID_X_EN: 1
; COMPUTE_PGM_RSRC2:TGID_Y_EN: 0
; COMPUTE_PGM_RSRC2:TGID_Z_EN: 0
; COMPUTE_PGM_RSRC2:TIDIG_COMP_CNT: 0
; COMPUTE_PGM_RSRC3_GFX90A:ACCUM_OFFSET: 0
; COMPUTE_PGM_RSRC3_GFX90A:TG_SPLIT: 0
	.section	.text._Z16warp_load_kernelILj1024ELj4ELj1ELN7rocprim17ROCPRIM_304000_NS16warp_load_methodE2EaEvPT3_S4_,"axG",@progbits,_Z16warp_load_kernelILj1024ELj4ELj1ELN7rocprim17ROCPRIM_304000_NS16warp_load_methodE2EaEvPT3_S4_,comdat
	.protected	_Z16warp_load_kernelILj1024ELj4ELj1ELN7rocprim17ROCPRIM_304000_NS16warp_load_methodE2EaEvPT3_S4_ ; -- Begin function _Z16warp_load_kernelILj1024ELj4ELj1ELN7rocprim17ROCPRIM_304000_NS16warp_load_methodE2EaEvPT3_S4_
	.globl	_Z16warp_load_kernelILj1024ELj4ELj1ELN7rocprim17ROCPRIM_304000_NS16warp_load_methodE2EaEvPT3_S4_
	.p2align	8
	.type	_Z16warp_load_kernelILj1024ELj4ELj1ELN7rocprim17ROCPRIM_304000_NS16warp_load_methodE2EaEvPT3_S4_,@function
_Z16warp_load_kernelILj1024ELj4ELj1ELN7rocprim17ROCPRIM_304000_NS16warp_load_methodE2EaEvPT3_S4_: ; @_Z16warp_load_kernelILj1024ELj4ELj1ELN7rocprim17ROCPRIM_304000_NS16warp_load_methodE2EaEvPT3_S4_
; %bb.0:
	s_load_dwordx4 s[0:3], s[4:5], 0x0
	v_lshlrev_b32_e32 v0, 2, v0
	s_waitcnt lgkmcnt(0)
	global_load_dword v1, v0, s[0:1]
	s_waitcnt vmcnt(0)
	global_store_dword v0, v1, s[2:3]
	s_endpgm
	.section	.rodata,"a",@progbits
	.p2align	6, 0x0
	.amdhsa_kernel _Z16warp_load_kernelILj1024ELj4ELj1ELN7rocprim17ROCPRIM_304000_NS16warp_load_methodE2EaEvPT3_S4_
		.amdhsa_group_segment_fixed_size 0
		.amdhsa_private_segment_fixed_size 0
		.amdhsa_kernarg_size 16
		.amdhsa_user_sgpr_count 6
		.amdhsa_user_sgpr_private_segment_buffer 1
		.amdhsa_user_sgpr_dispatch_ptr 0
		.amdhsa_user_sgpr_queue_ptr 0
		.amdhsa_user_sgpr_kernarg_segment_ptr 1
		.amdhsa_user_sgpr_dispatch_id 0
		.amdhsa_user_sgpr_flat_scratch_init 0
		.amdhsa_user_sgpr_kernarg_preload_length 0
		.amdhsa_user_sgpr_kernarg_preload_offset 0
		.amdhsa_user_sgpr_private_segment_size 0
		.amdhsa_uses_dynamic_stack 0
		.amdhsa_system_sgpr_private_segment_wavefront_offset 0
		.amdhsa_system_sgpr_workgroup_id_x 1
		.amdhsa_system_sgpr_workgroup_id_y 0
		.amdhsa_system_sgpr_workgroup_id_z 0
		.amdhsa_system_sgpr_workgroup_info 0
		.amdhsa_system_vgpr_workitem_id 0
		.amdhsa_next_free_vgpr 2
		.amdhsa_next_free_sgpr 6
		.amdhsa_accum_offset 4
		.amdhsa_reserve_vcc 0
		.amdhsa_reserve_flat_scratch 0
		.amdhsa_float_round_mode_32 0
		.amdhsa_float_round_mode_16_64 0
		.amdhsa_float_denorm_mode_32 3
		.amdhsa_float_denorm_mode_16_64 3
		.amdhsa_dx10_clamp 1
		.amdhsa_ieee_mode 1
		.amdhsa_fp16_overflow 0
		.amdhsa_tg_split 0
		.amdhsa_exception_fp_ieee_invalid_op 0
		.amdhsa_exception_fp_denorm_src 0
		.amdhsa_exception_fp_ieee_div_zero 0
		.amdhsa_exception_fp_ieee_overflow 0
		.amdhsa_exception_fp_ieee_underflow 0
		.amdhsa_exception_fp_ieee_inexact 0
		.amdhsa_exception_int_div_zero 0
	.end_amdhsa_kernel
	.section	.text._Z16warp_load_kernelILj1024ELj4ELj1ELN7rocprim17ROCPRIM_304000_NS16warp_load_methodE2EaEvPT3_S4_,"axG",@progbits,_Z16warp_load_kernelILj1024ELj4ELj1ELN7rocprim17ROCPRIM_304000_NS16warp_load_methodE2EaEvPT3_S4_,comdat
.Lfunc_end17:
	.size	_Z16warp_load_kernelILj1024ELj4ELj1ELN7rocprim17ROCPRIM_304000_NS16warp_load_methodE2EaEvPT3_S4_, .Lfunc_end17-_Z16warp_load_kernelILj1024ELj4ELj1ELN7rocprim17ROCPRIM_304000_NS16warp_load_methodE2EaEvPT3_S4_
                                        ; -- End function
	.section	.AMDGPU.csdata,"",@progbits
; Kernel info:
; codeLenInByte = 40
; NumSgprs: 10
; NumVgprs: 2
; NumAgprs: 0
; TotalNumVgprs: 2
; ScratchSize: 0
; MemoryBound: 0
; FloatMode: 240
; IeeeMode: 1
; LDSByteSize: 0 bytes/workgroup (compile time only)
; SGPRBlocks: 1
; VGPRBlocks: 0
; NumSGPRsForWavesPerEU: 10
; NumVGPRsForWavesPerEU: 2
; AccumOffset: 4
; Occupancy: 8
; WaveLimiterHint : 0
; COMPUTE_PGM_RSRC2:SCRATCH_EN: 0
; COMPUTE_PGM_RSRC2:USER_SGPR: 6
; COMPUTE_PGM_RSRC2:TRAP_HANDLER: 0
; COMPUTE_PGM_RSRC2:TGID_X_EN: 1
; COMPUTE_PGM_RSRC2:TGID_Y_EN: 0
; COMPUTE_PGM_RSRC2:TGID_Z_EN: 0
; COMPUTE_PGM_RSRC2:TIDIG_COMP_CNT: 0
; COMPUTE_PGM_RSRC3_GFX90A:ACCUM_OFFSET: 0
; COMPUTE_PGM_RSRC3_GFX90A:TG_SPLIT: 0
	.section	.text._Z16warp_load_kernelILj1024ELj4ELj1ELN7rocprim17ROCPRIM_304000_NS16warp_load_methodE1EaEvPT3_S4_,"axG",@progbits,_Z16warp_load_kernelILj1024ELj4ELj1ELN7rocprim17ROCPRIM_304000_NS16warp_load_methodE1EaEvPT3_S4_,comdat
	.protected	_Z16warp_load_kernelILj1024ELj4ELj1ELN7rocprim17ROCPRIM_304000_NS16warp_load_methodE1EaEvPT3_S4_ ; -- Begin function _Z16warp_load_kernelILj1024ELj4ELj1ELN7rocprim17ROCPRIM_304000_NS16warp_load_methodE1EaEvPT3_S4_
	.globl	_Z16warp_load_kernelILj1024ELj4ELj1ELN7rocprim17ROCPRIM_304000_NS16warp_load_methodE1EaEvPT3_S4_
	.p2align	8
	.type	_Z16warp_load_kernelILj1024ELj4ELj1ELN7rocprim17ROCPRIM_304000_NS16warp_load_methodE1EaEvPT3_S4_,@function
_Z16warp_load_kernelILj1024ELj4ELj1ELN7rocprim17ROCPRIM_304000_NS16warp_load_methodE1EaEvPT3_S4_: ; @_Z16warp_load_kernelILj1024ELj4ELj1ELN7rocprim17ROCPRIM_304000_NS16warp_load_methodE1EaEvPT3_S4_
; %bb.0:
	s_load_dwordx4 s[0:3], s[4:5], 0x0
	v_lshlrev_b32_e32 v0, 2, v0
	s_waitcnt lgkmcnt(0)
	global_load_dword v1, v0, s[0:1]
	s_waitcnt vmcnt(0)
	global_store_dword v0, v1, s[2:3]
	s_endpgm
	.section	.rodata,"a",@progbits
	.p2align	6, 0x0
	.amdhsa_kernel _Z16warp_load_kernelILj1024ELj4ELj1ELN7rocprim17ROCPRIM_304000_NS16warp_load_methodE1EaEvPT3_S4_
		.amdhsa_group_segment_fixed_size 0
		.amdhsa_private_segment_fixed_size 0
		.amdhsa_kernarg_size 16
		.amdhsa_user_sgpr_count 6
		.amdhsa_user_sgpr_private_segment_buffer 1
		.amdhsa_user_sgpr_dispatch_ptr 0
		.amdhsa_user_sgpr_queue_ptr 0
		.amdhsa_user_sgpr_kernarg_segment_ptr 1
		.amdhsa_user_sgpr_dispatch_id 0
		.amdhsa_user_sgpr_flat_scratch_init 0
		.amdhsa_user_sgpr_kernarg_preload_length 0
		.amdhsa_user_sgpr_kernarg_preload_offset 0
		.amdhsa_user_sgpr_private_segment_size 0
		.amdhsa_uses_dynamic_stack 0
		.amdhsa_system_sgpr_private_segment_wavefront_offset 0
		.amdhsa_system_sgpr_workgroup_id_x 1
		.amdhsa_system_sgpr_workgroup_id_y 0
		.amdhsa_system_sgpr_workgroup_id_z 0
		.amdhsa_system_sgpr_workgroup_info 0
		.amdhsa_system_vgpr_workitem_id 0
		.amdhsa_next_free_vgpr 2
		.amdhsa_next_free_sgpr 6
		.amdhsa_accum_offset 4
		.amdhsa_reserve_vcc 0
		.amdhsa_reserve_flat_scratch 0
		.amdhsa_float_round_mode_32 0
		.amdhsa_float_round_mode_16_64 0
		.amdhsa_float_denorm_mode_32 3
		.amdhsa_float_denorm_mode_16_64 3
		.amdhsa_dx10_clamp 1
		.amdhsa_ieee_mode 1
		.amdhsa_fp16_overflow 0
		.amdhsa_tg_split 0
		.amdhsa_exception_fp_ieee_invalid_op 0
		.amdhsa_exception_fp_denorm_src 0
		.amdhsa_exception_fp_ieee_div_zero 0
		.amdhsa_exception_fp_ieee_overflow 0
		.amdhsa_exception_fp_ieee_underflow 0
		.amdhsa_exception_fp_ieee_inexact 0
		.amdhsa_exception_int_div_zero 0
	.end_amdhsa_kernel
	.section	.text._Z16warp_load_kernelILj1024ELj4ELj1ELN7rocprim17ROCPRIM_304000_NS16warp_load_methodE1EaEvPT3_S4_,"axG",@progbits,_Z16warp_load_kernelILj1024ELj4ELj1ELN7rocprim17ROCPRIM_304000_NS16warp_load_methodE1EaEvPT3_S4_,comdat
.Lfunc_end18:
	.size	_Z16warp_load_kernelILj1024ELj4ELj1ELN7rocprim17ROCPRIM_304000_NS16warp_load_methodE1EaEvPT3_S4_, .Lfunc_end18-_Z16warp_load_kernelILj1024ELj4ELj1ELN7rocprim17ROCPRIM_304000_NS16warp_load_methodE1EaEvPT3_S4_
                                        ; -- End function
	.section	.AMDGPU.csdata,"",@progbits
; Kernel info:
; codeLenInByte = 40
; NumSgprs: 10
; NumVgprs: 2
; NumAgprs: 0
; TotalNumVgprs: 2
; ScratchSize: 0
; MemoryBound: 0
; FloatMode: 240
; IeeeMode: 1
; LDSByteSize: 0 bytes/workgroup (compile time only)
; SGPRBlocks: 1
; VGPRBlocks: 0
; NumSGPRsForWavesPerEU: 10
; NumVGPRsForWavesPerEU: 2
; AccumOffset: 4
; Occupancy: 8
; WaveLimiterHint : 0
; COMPUTE_PGM_RSRC2:SCRATCH_EN: 0
; COMPUTE_PGM_RSRC2:USER_SGPR: 6
; COMPUTE_PGM_RSRC2:TRAP_HANDLER: 0
; COMPUTE_PGM_RSRC2:TGID_X_EN: 1
; COMPUTE_PGM_RSRC2:TGID_Y_EN: 0
; COMPUTE_PGM_RSRC2:TGID_Z_EN: 0
; COMPUTE_PGM_RSRC2:TIDIG_COMP_CNT: 0
; COMPUTE_PGM_RSRC3_GFX90A:ACCUM_OFFSET: 0
; COMPUTE_PGM_RSRC3_GFX90A:TG_SPLIT: 0
	.section	.text._Z16warp_load_kernelILj1024ELj4ELj1ELN7rocprim17ROCPRIM_304000_NS16warp_load_methodE0EaEvPT3_S4_,"axG",@progbits,_Z16warp_load_kernelILj1024ELj4ELj1ELN7rocprim17ROCPRIM_304000_NS16warp_load_methodE0EaEvPT3_S4_,comdat
	.protected	_Z16warp_load_kernelILj1024ELj4ELj1ELN7rocprim17ROCPRIM_304000_NS16warp_load_methodE0EaEvPT3_S4_ ; -- Begin function _Z16warp_load_kernelILj1024ELj4ELj1ELN7rocprim17ROCPRIM_304000_NS16warp_load_methodE0EaEvPT3_S4_
	.globl	_Z16warp_load_kernelILj1024ELj4ELj1ELN7rocprim17ROCPRIM_304000_NS16warp_load_methodE0EaEvPT3_S4_
	.p2align	8
	.type	_Z16warp_load_kernelILj1024ELj4ELj1ELN7rocprim17ROCPRIM_304000_NS16warp_load_methodE0EaEvPT3_S4_,@function
_Z16warp_load_kernelILj1024ELj4ELj1ELN7rocprim17ROCPRIM_304000_NS16warp_load_methodE0EaEvPT3_S4_: ; @_Z16warp_load_kernelILj1024ELj4ELj1ELN7rocprim17ROCPRIM_304000_NS16warp_load_methodE0EaEvPT3_S4_
; %bb.0:
	s_load_dwordx4 s[0:3], s[4:5], 0x0
	v_lshlrev_b32_e32 v0, 2, v0
	s_waitcnt lgkmcnt(0)
	global_load_dword v1, v0, s[0:1]
	s_waitcnt vmcnt(0)
	global_store_dword v0, v1, s[2:3]
	s_endpgm
	.section	.rodata,"a",@progbits
	.p2align	6, 0x0
	.amdhsa_kernel _Z16warp_load_kernelILj1024ELj4ELj1ELN7rocprim17ROCPRIM_304000_NS16warp_load_methodE0EaEvPT3_S4_
		.amdhsa_group_segment_fixed_size 0
		.amdhsa_private_segment_fixed_size 0
		.amdhsa_kernarg_size 16
		.amdhsa_user_sgpr_count 6
		.amdhsa_user_sgpr_private_segment_buffer 1
		.amdhsa_user_sgpr_dispatch_ptr 0
		.amdhsa_user_sgpr_queue_ptr 0
		.amdhsa_user_sgpr_kernarg_segment_ptr 1
		.amdhsa_user_sgpr_dispatch_id 0
		.amdhsa_user_sgpr_flat_scratch_init 0
		.amdhsa_user_sgpr_kernarg_preload_length 0
		.amdhsa_user_sgpr_kernarg_preload_offset 0
		.amdhsa_user_sgpr_private_segment_size 0
		.amdhsa_uses_dynamic_stack 0
		.amdhsa_system_sgpr_private_segment_wavefront_offset 0
		.amdhsa_system_sgpr_workgroup_id_x 1
		.amdhsa_system_sgpr_workgroup_id_y 0
		.amdhsa_system_sgpr_workgroup_id_z 0
		.amdhsa_system_sgpr_workgroup_info 0
		.amdhsa_system_vgpr_workitem_id 0
		.amdhsa_next_free_vgpr 2
		.amdhsa_next_free_sgpr 6
		.amdhsa_accum_offset 4
		.amdhsa_reserve_vcc 0
		.amdhsa_reserve_flat_scratch 0
		.amdhsa_float_round_mode_32 0
		.amdhsa_float_round_mode_16_64 0
		.amdhsa_float_denorm_mode_32 3
		.amdhsa_float_denorm_mode_16_64 3
		.amdhsa_dx10_clamp 1
		.amdhsa_ieee_mode 1
		.amdhsa_fp16_overflow 0
		.amdhsa_tg_split 0
		.amdhsa_exception_fp_ieee_invalid_op 0
		.amdhsa_exception_fp_denorm_src 0
		.amdhsa_exception_fp_ieee_div_zero 0
		.amdhsa_exception_fp_ieee_overflow 0
		.amdhsa_exception_fp_ieee_underflow 0
		.amdhsa_exception_fp_ieee_inexact 0
		.amdhsa_exception_int_div_zero 0
	.end_amdhsa_kernel
	.section	.text._Z16warp_load_kernelILj1024ELj4ELj1ELN7rocprim17ROCPRIM_304000_NS16warp_load_methodE0EaEvPT3_S4_,"axG",@progbits,_Z16warp_load_kernelILj1024ELj4ELj1ELN7rocprim17ROCPRIM_304000_NS16warp_load_methodE0EaEvPT3_S4_,comdat
.Lfunc_end19:
	.size	_Z16warp_load_kernelILj1024ELj4ELj1ELN7rocprim17ROCPRIM_304000_NS16warp_load_methodE0EaEvPT3_S4_, .Lfunc_end19-_Z16warp_load_kernelILj1024ELj4ELj1ELN7rocprim17ROCPRIM_304000_NS16warp_load_methodE0EaEvPT3_S4_
                                        ; -- End function
	.section	.AMDGPU.csdata,"",@progbits
; Kernel info:
; codeLenInByte = 40
; NumSgprs: 10
; NumVgprs: 2
; NumAgprs: 0
; TotalNumVgprs: 2
; ScratchSize: 0
; MemoryBound: 0
; FloatMode: 240
; IeeeMode: 1
; LDSByteSize: 0 bytes/workgroup (compile time only)
; SGPRBlocks: 1
; VGPRBlocks: 0
; NumSGPRsForWavesPerEU: 10
; NumVGPRsForWavesPerEU: 2
; AccumOffset: 4
; Occupancy: 8
; WaveLimiterHint : 0
; COMPUTE_PGM_RSRC2:SCRATCH_EN: 0
; COMPUTE_PGM_RSRC2:USER_SGPR: 6
; COMPUTE_PGM_RSRC2:TRAP_HANDLER: 0
; COMPUTE_PGM_RSRC2:TGID_X_EN: 1
; COMPUTE_PGM_RSRC2:TGID_Y_EN: 0
; COMPUTE_PGM_RSRC2:TGID_Z_EN: 0
; COMPUTE_PGM_RSRC2:TIDIG_COMP_CNT: 0
; COMPUTE_PGM_RSRC3_GFX90A:ACCUM_OFFSET: 0
; COMPUTE_PGM_RSRC3_GFX90A:TG_SPLIT: 0
	.section	.text._Z16warp_load_kernelILj1024ELj4ELj32ELN7rocprim17ROCPRIM_304000_NS16warp_load_methodE3E15HIP_vector_typeIfLj2EEEvPT3_S6_,"axG",@progbits,_Z16warp_load_kernelILj1024ELj4ELj32ELN7rocprim17ROCPRIM_304000_NS16warp_load_methodE3E15HIP_vector_typeIfLj2EEEvPT3_S6_,comdat
	.protected	_Z16warp_load_kernelILj1024ELj4ELj32ELN7rocprim17ROCPRIM_304000_NS16warp_load_methodE3E15HIP_vector_typeIfLj2EEEvPT3_S6_ ; -- Begin function _Z16warp_load_kernelILj1024ELj4ELj32ELN7rocprim17ROCPRIM_304000_NS16warp_load_methodE3E15HIP_vector_typeIfLj2EEEvPT3_S6_
	.globl	_Z16warp_load_kernelILj1024ELj4ELj32ELN7rocprim17ROCPRIM_304000_NS16warp_load_methodE3E15HIP_vector_typeIfLj2EEEvPT3_S6_
	.p2align	8
	.type	_Z16warp_load_kernelILj1024ELj4ELj32ELN7rocprim17ROCPRIM_304000_NS16warp_load_methodE3E15HIP_vector_typeIfLj2EEEvPT3_S6_,@function
_Z16warp_load_kernelILj1024ELj4ELj32ELN7rocprim17ROCPRIM_304000_NS16warp_load_methodE3E15HIP_vector_typeIfLj2EEEvPT3_S6_: ; @_Z16warp_load_kernelILj1024ELj4ELj32ELN7rocprim17ROCPRIM_304000_NS16warp_load_methodE3E15HIP_vector_typeIfLj2EEEvPT3_S6_
; %bb.0:
	s_load_dwordx4 s[0:3], s[4:5], 0x0
	v_lshlrev_b32_e32 v10, 5, v0
	v_and_b32_e32 v11, 0x7c00, v10
	s_waitcnt lgkmcnt(0)
	v_mov_b32_e32 v0, s1
	v_add_co_u32_e32 v1, vcc, s0, v11
	v_addc_co_u32_e32 v2, vcc, 0, v0, vcc
	v_mbcnt_lo_u32_b32 v0, -1, 0
	v_mbcnt_hi_u32_b32 v0, -1, v0
	v_and_b32_e32 v12, 31, v0
	v_lshlrev_b32_e32 v13, 3, v12
	v_add_co_u32_e32 v0, vcc, v1, v13
	v_addc_co_u32_e32 v1, vcc, 0, v2, vcc
	global_load_dwordx2 v[2:3], v[0:1], off
	global_load_dwordx2 v[4:5], v[0:1], off offset:256
	global_load_dwordx2 v[6:7], v[0:1], off offset:512
	;; [unrolled: 1-line block ×3, first 2 shown]
	v_or_b32_e32 v0, v11, v13
	v_mad_u32_u24 v11, v12, 24, v0
	s_waitcnt vmcnt(2)
	ds_write2_b64 v0, v[2:3], v[4:5] offset1:32
	s_waitcnt vmcnt(0)
	ds_write2_b64 v0, v[6:7], v[8:9] offset0:64 offset1:96
	; wave barrier
	ds_read_b128 v[0:3], v11
	ds_read_b128 v[4:7], v11 offset:16
	s_waitcnt lgkmcnt(1)
	global_store_dwordx4 v10, v[0:3], s[2:3]
	s_waitcnt lgkmcnt(0)
	global_store_dwordx4 v10, v[4:7], s[2:3] offset:16
	s_endpgm
	.section	.rodata,"a",@progbits
	.p2align	6, 0x0
	.amdhsa_kernel _Z16warp_load_kernelILj1024ELj4ELj32ELN7rocprim17ROCPRIM_304000_NS16warp_load_methodE3E15HIP_vector_typeIfLj2EEEvPT3_S6_
		.amdhsa_group_segment_fixed_size 32768
		.amdhsa_private_segment_fixed_size 0
		.amdhsa_kernarg_size 16
		.amdhsa_user_sgpr_count 6
		.amdhsa_user_sgpr_private_segment_buffer 1
		.amdhsa_user_sgpr_dispatch_ptr 0
		.amdhsa_user_sgpr_queue_ptr 0
		.amdhsa_user_sgpr_kernarg_segment_ptr 1
		.amdhsa_user_sgpr_dispatch_id 0
		.amdhsa_user_sgpr_flat_scratch_init 0
		.amdhsa_user_sgpr_kernarg_preload_length 0
		.amdhsa_user_sgpr_kernarg_preload_offset 0
		.amdhsa_user_sgpr_private_segment_size 0
		.amdhsa_uses_dynamic_stack 0
		.amdhsa_system_sgpr_private_segment_wavefront_offset 0
		.amdhsa_system_sgpr_workgroup_id_x 1
		.amdhsa_system_sgpr_workgroup_id_y 0
		.amdhsa_system_sgpr_workgroup_id_z 0
		.amdhsa_system_sgpr_workgroup_info 0
		.amdhsa_system_vgpr_workitem_id 0
		.amdhsa_next_free_vgpr 14
		.amdhsa_next_free_sgpr 6
		.amdhsa_accum_offset 16
		.amdhsa_reserve_vcc 1
		.amdhsa_reserve_flat_scratch 0
		.amdhsa_float_round_mode_32 0
		.amdhsa_float_round_mode_16_64 0
		.amdhsa_float_denorm_mode_32 3
		.amdhsa_float_denorm_mode_16_64 3
		.amdhsa_dx10_clamp 1
		.amdhsa_ieee_mode 1
		.amdhsa_fp16_overflow 0
		.amdhsa_tg_split 0
		.amdhsa_exception_fp_ieee_invalid_op 0
		.amdhsa_exception_fp_denorm_src 0
		.amdhsa_exception_fp_ieee_div_zero 0
		.amdhsa_exception_fp_ieee_overflow 0
		.amdhsa_exception_fp_ieee_underflow 0
		.amdhsa_exception_fp_ieee_inexact 0
		.amdhsa_exception_int_div_zero 0
	.end_amdhsa_kernel
	.section	.text._Z16warp_load_kernelILj1024ELj4ELj32ELN7rocprim17ROCPRIM_304000_NS16warp_load_methodE3E15HIP_vector_typeIfLj2EEEvPT3_S6_,"axG",@progbits,_Z16warp_load_kernelILj1024ELj4ELj32ELN7rocprim17ROCPRIM_304000_NS16warp_load_methodE3E15HIP_vector_typeIfLj2EEEvPT3_S6_,comdat
.Lfunc_end20:
	.size	_Z16warp_load_kernelILj1024ELj4ELj32ELN7rocprim17ROCPRIM_304000_NS16warp_load_methodE3E15HIP_vector_typeIfLj2EEEvPT3_S6_, .Lfunc_end20-_Z16warp_load_kernelILj1024ELj4ELj32ELN7rocprim17ROCPRIM_304000_NS16warp_load_methodE3E15HIP_vector_typeIfLj2EEEvPT3_S6_
                                        ; -- End function
	.section	.AMDGPU.csdata,"",@progbits
; Kernel info:
; codeLenInByte = 180
; NumSgprs: 10
; NumVgprs: 14
; NumAgprs: 0
; TotalNumVgprs: 14
; ScratchSize: 0
; MemoryBound: 1
; FloatMode: 240
; IeeeMode: 1
; LDSByteSize: 32768 bytes/workgroup (compile time only)
; SGPRBlocks: 1
; VGPRBlocks: 1
; NumSGPRsForWavesPerEU: 10
; NumVGPRsForWavesPerEU: 14
; AccumOffset: 16
; Occupancy: 8
; WaveLimiterHint : 1
; COMPUTE_PGM_RSRC2:SCRATCH_EN: 0
; COMPUTE_PGM_RSRC2:USER_SGPR: 6
; COMPUTE_PGM_RSRC2:TRAP_HANDLER: 0
; COMPUTE_PGM_RSRC2:TGID_X_EN: 1
; COMPUTE_PGM_RSRC2:TGID_Y_EN: 0
; COMPUTE_PGM_RSRC2:TGID_Z_EN: 0
; COMPUTE_PGM_RSRC2:TIDIG_COMP_CNT: 0
; COMPUTE_PGM_RSRC3_GFX90A:ACCUM_OFFSET: 3
; COMPUTE_PGM_RSRC3_GFX90A:TG_SPLIT: 0
	.section	.text._Z16warp_load_kernelILj1024ELj4ELj32ELN7rocprim17ROCPRIM_304000_NS16warp_load_methodE2E15HIP_vector_typeIfLj2EEEvPT3_S6_,"axG",@progbits,_Z16warp_load_kernelILj1024ELj4ELj32ELN7rocprim17ROCPRIM_304000_NS16warp_load_methodE2E15HIP_vector_typeIfLj2EEEvPT3_S6_,comdat
	.protected	_Z16warp_load_kernelILj1024ELj4ELj32ELN7rocprim17ROCPRIM_304000_NS16warp_load_methodE2E15HIP_vector_typeIfLj2EEEvPT3_S6_ ; -- Begin function _Z16warp_load_kernelILj1024ELj4ELj32ELN7rocprim17ROCPRIM_304000_NS16warp_load_methodE2E15HIP_vector_typeIfLj2EEEvPT3_S6_
	.globl	_Z16warp_load_kernelILj1024ELj4ELj32ELN7rocprim17ROCPRIM_304000_NS16warp_load_methodE2E15HIP_vector_typeIfLj2EEEvPT3_S6_
	.p2align	8
	.type	_Z16warp_load_kernelILj1024ELj4ELj32ELN7rocprim17ROCPRIM_304000_NS16warp_load_methodE2E15HIP_vector_typeIfLj2EEEvPT3_S6_,@function
_Z16warp_load_kernelILj1024ELj4ELj32ELN7rocprim17ROCPRIM_304000_NS16warp_load_methodE2E15HIP_vector_typeIfLj2EEEvPT3_S6_: ; @_Z16warp_load_kernelILj1024ELj4ELj32ELN7rocprim17ROCPRIM_304000_NS16warp_load_methodE2E15HIP_vector_typeIfLj2EEEvPT3_S6_
; %bb.0:
	s_load_dwordx4 s[0:3], s[4:5], 0x0
	v_lshlrev_b32_e32 v10, 5, v0
	v_mbcnt_lo_u32_b32 v2, -1, 0
	v_and_b32_e32 v0, 0x7c00, v10
	v_mbcnt_hi_u32_b32 v2, -1, v2
	s_waitcnt lgkmcnt(0)
	v_mov_b32_e32 v1, s1
	v_add_co_u32_e32 v0, vcc, s0, v0
	v_lshlrev_b32_e32 v2, 5, v2
	v_addc_co_u32_e32 v1, vcc, 0, v1, vcc
	v_and_b32_e32 v2, 0x3e0, v2
	v_add_co_u32_e32 v8, vcc, v0, v2
	v_addc_co_u32_e32 v9, vcc, 0, v1, vcc
	global_load_dwordx4 v[0:3], v[8:9], off
	global_load_dwordx4 v[4:7], v[8:9], off offset:16
	s_waitcnt vmcnt(1)
	global_store_dwordx4 v10, v[0:3], s[2:3]
	s_waitcnt vmcnt(1)
	global_store_dwordx4 v10, v[4:7], s[2:3] offset:16
	s_endpgm
	.section	.rodata,"a",@progbits
	.p2align	6, 0x0
	.amdhsa_kernel _Z16warp_load_kernelILj1024ELj4ELj32ELN7rocprim17ROCPRIM_304000_NS16warp_load_methodE2E15HIP_vector_typeIfLj2EEEvPT3_S6_
		.amdhsa_group_segment_fixed_size 0
		.amdhsa_private_segment_fixed_size 0
		.amdhsa_kernarg_size 16
		.amdhsa_user_sgpr_count 6
		.amdhsa_user_sgpr_private_segment_buffer 1
		.amdhsa_user_sgpr_dispatch_ptr 0
		.amdhsa_user_sgpr_queue_ptr 0
		.amdhsa_user_sgpr_kernarg_segment_ptr 1
		.amdhsa_user_sgpr_dispatch_id 0
		.amdhsa_user_sgpr_flat_scratch_init 0
		.amdhsa_user_sgpr_kernarg_preload_length 0
		.amdhsa_user_sgpr_kernarg_preload_offset 0
		.amdhsa_user_sgpr_private_segment_size 0
		.amdhsa_uses_dynamic_stack 0
		.amdhsa_system_sgpr_private_segment_wavefront_offset 0
		.amdhsa_system_sgpr_workgroup_id_x 1
		.amdhsa_system_sgpr_workgroup_id_y 0
		.amdhsa_system_sgpr_workgroup_id_z 0
		.amdhsa_system_sgpr_workgroup_info 0
		.amdhsa_system_vgpr_workitem_id 0
		.amdhsa_next_free_vgpr 11
		.amdhsa_next_free_sgpr 6
		.amdhsa_accum_offset 12
		.amdhsa_reserve_vcc 1
		.amdhsa_reserve_flat_scratch 0
		.amdhsa_float_round_mode_32 0
		.amdhsa_float_round_mode_16_64 0
		.amdhsa_float_denorm_mode_32 3
		.amdhsa_float_denorm_mode_16_64 3
		.amdhsa_dx10_clamp 1
		.amdhsa_ieee_mode 1
		.amdhsa_fp16_overflow 0
		.amdhsa_tg_split 0
		.amdhsa_exception_fp_ieee_invalid_op 0
		.amdhsa_exception_fp_denorm_src 0
		.amdhsa_exception_fp_ieee_div_zero 0
		.amdhsa_exception_fp_ieee_overflow 0
		.amdhsa_exception_fp_ieee_underflow 0
		.amdhsa_exception_fp_ieee_inexact 0
		.amdhsa_exception_int_div_zero 0
	.end_amdhsa_kernel
	.section	.text._Z16warp_load_kernelILj1024ELj4ELj32ELN7rocprim17ROCPRIM_304000_NS16warp_load_methodE2E15HIP_vector_typeIfLj2EEEvPT3_S6_,"axG",@progbits,_Z16warp_load_kernelILj1024ELj4ELj32ELN7rocprim17ROCPRIM_304000_NS16warp_load_methodE2E15HIP_vector_typeIfLj2EEEvPT3_S6_,comdat
.Lfunc_end21:
	.size	_Z16warp_load_kernelILj1024ELj4ELj32ELN7rocprim17ROCPRIM_304000_NS16warp_load_methodE2E15HIP_vector_typeIfLj2EEEvPT3_S6_, .Lfunc_end21-_Z16warp_load_kernelILj1024ELj4ELj32ELN7rocprim17ROCPRIM_304000_NS16warp_load_methodE2E15HIP_vector_typeIfLj2EEEvPT3_S6_
                                        ; -- End function
	.section	.AMDGPU.csdata,"",@progbits
; Kernel info:
; codeLenInByte = 116
; NumSgprs: 10
; NumVgprs: 11
; NumAgprs: 0
; TotalNumVgprs: 11
; ScratchSize: 0
; MemoryBound: 0
; FloatMode: 240
; IeeeMode: 1
; LDSByteSize: 0 bytes/workgroup (compile time only)
; SGPRBlocks: 1
; VGPRBlocks: 1
; NumSGPRsForWavesPerEU: 10
; NumVGPRsForWavesPerEU: 11
; AccumOffset: 12
; Occupancy: 8
; WaveLimiterHint : 0
; COMPUTE_PGM_RSRC2:SCRATCH_EN: 0
; COMPUTE_PGM_RSRC2:USER_SGPR: 6
; COMPUTE_PGM_RSRC2:TRAP_HANDLER: 0
; COMPUTE_PGM_RSRC2:TGID_X_EN: 1
; COMPUTE_PGM_RSRC2:TGID_Y_EN: 0
; COMPUTE_PGM_RSRC2:TGID_Z_EN: 0
; COMPUTE_PGM_RSRC2:TIDIG_COMP_CNT: 0
; COMPUTE_PGM_RSRC3_GFX90A:ACCUM_OFFSET: 2
; COMPUTE_PGM_RSRC3_GFX90A:TG_SPLIT: 0
	.section	.text._Z16warp_load_kernelILj1024ELj4ELj32ELN7rocprim17ROCPRIM_304000_NS16warp_load_methodE1E15HIP_vector_typeIfLj2EEEvPT3_S6_,"axG",@progbits,_Z16warp_load_kernelILj1024ELj4ELj32ELN7rocprim17ROCPRIM_304000_NS16warp_load_methodE1E15HIP_vector_typeIfLj2EEEvPT3_S6_,comdat
	.protected	_Z16warp_load_kernelILj1024ELj4ELj32ELN7rocprim17ROCPRIM_304000_NS16warp_load_methodE1E15HIP_vector_typeIfLj2EEEvPT3_S6_ ; -- Begin function _Z16warp_load_kernelILj1024ELj4ELj32ELN7rocprim17ROCPRIM_304000_NS16warp_load_methodE1E15HIP_vector_typeIfLj2EEEvPT3_S6_
	.globl	_Z16warp_load_kernelILj1024ELj4ELj32ELN7rocprim17ROCPRIM_304000_NS16warp_load_methodE1E15HIP_vector_typeIfLj2EEEvPT3_S6_
	.p2align	8
	.type	_Z16warp_load_kernelILj1024ELj4ELj32ELN7rocprim17ROCPRIM_304000_NS16warp_load_methodE1E15HIP_vector_typeIfLj2EEEvPT3_S6_,@function
_Z16warp_load_kernelILj1024ELj4ELj32ELN7rocprim17ROCPRIM_304000_NS16warp_load_methodE1E15HIP_vector_typeIfLj2EEEvPT3_S6_: ; @_Z16warp_load_kernelILj1024ELj4ELj32ELN7rocprim17ROCPRIM_304000_NS16warp_load_methodE1E15HIP_vector_typeIfLj2EEEvPT3_S6_
; %bb.0:
	s_load_dwordx4 s[0:3], s[4:5], 0x0
	v_lshlrev_b32_e32 v10, 5, v0
	v_mbcnt_lo_u32_b32 v2, -1, 0
	v_and_b32_e32 v0, 0x7c00, v10
	v_mbcnt_hi_u32_b32 v2, -1, v2
	s_waitcnt lgkmcnt(0)
	v_mov_b32_e32 v1, s1
	v_add_co_u32_e32 v0, vcc, s0, v0
	v_and_b32_e32 v2, 31, v2
	v_addc_co_u32_e32 v1, vcc, 0, v1, vcc
	v_lshlrev_b32_e32 v2, 3, v2
	v_add_co_u32_e32 v8, vcc, v0, v2
	v_addc_co_u32_e32 v9, vcc, 0, v1, vcc
	global_load_dwordx2 v[0:1], v[8:9], off
	global_load_dwordx2 v[2:3], v[8:9], off offset:256
	global_load_dwordx2 v[4:5], v[8:9], off offset:512
	;; [unrolled: 1-line block ×3, first 2 shown]
	s_waitcnt vmcnt(2)
	global_store_dwordx4 v10, v[0:3], s[2:3]
	s_waitcnt vmcnt(1)
	global_store_dwordx4 v10, v[4:7], s[2:3] offset:16
	s_endpgm
	.section	.rodata,"a",@progbits
	.p2align	6, 0x0
	.amdhsa_kernel _Z16warp_load_kernelILj1024ELj4ELj32ELN7rocprim17ROCPRIM_304000_NS16warp_load_methodE1E15HIP_vector_typeIfLj2EEEvPT3_S6_
		.amdhsa_group_segment_fixed_size 0
		.amdhsa_private_segment_fixed_size 0
		.amdhsa_kernarg_size 16
		.amdhsa_user_sgpr_count 6
		.amdhsa_user_sgpr_private_segment_buffer 1
		.amdhsa_user_sgpr_dispatch_ptr 0
		.amdhsa_user_sgpr_queue_ptr 0
		.amdhsa_user_sgpr_kernarg_segment_ptr 1
		.amdhsa_user_sgpr_dispatch_id 0
		.amdhsa_user_sgpr_flat_scratch_init 0
		.amdhsa_user_sgpr_kernarg_preload_length 0
		.amdhsa_user_sgpr_kernarg_preload_offset 0
		.amdhsa_user_sgpr_private_segment_size 0
		.amdhsa_uses_dynamic_stack 0
		.amdhsa_system_sgpr_private_segment_wavefront_offset 0
		.amdhsa_system_sgpr_workgroup_id_x 1
		.amdhsa_system_sgpr_workgroup_id_y 0
		.amdhsa_system_sgpr_workgroup_id_z 0
		.amdhsa_system_sgpr_workgroup_info 0
		.amdhsa_system_vgpr_workitem_id 0
		.amdhsa_next_free_vgpr 11
		.amdhsa_next_free_sgpr 6
		.amdhsa_accum_offset 12
		.amdhsa_reserve_vcc 1
		.amdhsa_reserve_flat_scratch 0
		.amdhsa_float_round_mode_32 0
		.amdhsa_float_round_mode_16_64 0
		.amdhsa_float_denorm_mode_32 3
		.amdhsa_float_denorm_mode_16_64 3
		.amdhsa_dx10_clamp 1
		.amdhsa_ieee_mode 1
		.amdhsa_fp16_overflow 0
		.amdhsa_tg_split 0
		.amdhsa_exception_fp_ieee_invalid_op 0
		.amdhsa_exception_fp_denorm_src 0
		.amdhsa_exception_fp_ieee_div_zero 0
		.amdhsa_exception_fp_ieee_overflow 0
		.amdhsa_exception_fp_ieee_underflow 0
		.amdhsa_exception_fp_ieee_inexact 0
		.amdhsa_exception_int_div_zero 0
	.end_amdhsa_kernel
	.section	.text._Z16warp_load_kernelILj1024ELj4ELj32ELN7rocprim17ROCPRIM_304000_NS16warp_load_methodE1E15HIP_vector_typeIfLj2EEEvPT3_S6_,"axG",@progbits,_Z16warp_load_kernelILj1024ELj4ELj32ELN7rocprim17ROCPRIM_304000_NS16warp_load_methodE1E15HIP_vector_typeIfLj2EEEvPT3_S6_,comdat
.Lfunc_end22:
	.size	_Z16warp_load_kernelILj1024ELj4ELj32ELN7rocprim17ROCPRIM_304000_NS16warp_load_methodE1E15HIP_vector_typeIfLj2EEEvPT3_S6_, .Lfunc_end22-_Z16warp_load_kernelILj1024ELj4ELj32ELN7rocprim17ROCPRIM_304000_NS16warp_load_methodE1E15HIP_vector_typeIfLj2EEEvPT3_S6_
                                        ; -- End function
	.section	.AMDGPU.csdata,"",@progbits
; Kernel info:
; codeLenInByte = 128
; NumSgprs: 10
; NumVgprs: 11
; NumAgprs: 0
; TotalNumVgprs: 11
; ScratchSize: 0
; MemoryBound: 0
; FloatMode: 240
; IeeeMode: 1
; LDSByteSize: 0 bytes/workgroup (compile time only)
; SGPRBlocks: 1
; VGPRBlocks: 1
; NumSGPRsForWavesPerEU: 10
; NumVGPRsForWavesPerEU: 11
; AccumOffset: 12
; Occupancy: 8
; WaveLimiterHint : 1
; COMPUTE_PGM_RSRC2:SCRATCH_EN: 0
; COMPUTE_PGM_RSRC2:USER_SGPR: 6
; COMPUTE_PGM_RSRC2:TRAP_HANDLER: 0
; COMPUTE_PGM_RSRC2:TGID_X_EN: 1
; COMPUTE_PGM_RSRC2:TGID_Y_EN: 0
; COMPUTE_PGM_RSRC2:TGID_Z_EN: 0
; COMPUTE_PGM_RSRC2:TIDIG_COMP_CNT: 0
; COMPUTE_PGM_RSRC3_GFX90A:ACCUM_OFFSET: 2
; COMPUTE_PGM_RSRC3_GFX90A:TG_SPLIT: 0
	.section	.text._Z16warp_load_kernelILj1024ELj4ELj32ELN7rocprim17ROCPRIM_304000_NS16warp_load_methodE0E15HIP_vector_typeIfLj2EEEvPT3_S6_,"axG",@progbits,_Z16warp_load_kernelILj1024ELj4ELj32ELN7rocprim17ROCPRIM_304000_NS16warp_load_methodE0E15HIP_vector_typeIfLj2EEEvPT3_S6_,comdat
	.protected	_Z16warp_load_kernelILj1024ELj4ELj32ELN7rocprim17ROCPRIM_304000_NS16warp_load_methodE0E15HIP_vector_typeIfLj2EEEvPT3_S6_ ; -- Begin function _Z16warp_load_kernelILj1024ELj4ELj32ELN7rocprim17ROCPRIM_304000_NS16warp_load_methodE0E15HIP_vector_typeIfLj2EEEvPT3_S6_
	.globl	_Z16warp_load_kernelILj1024ELj4ELj32ELN7rocprim17ROCPRIM_304000_NS16warp_load_methodE0E15HIP_vector_typeIfLj2EEEvPT3_S6_
	.p2align	8
	.type	_Z16warp_load_kernelILj1024ELj4ELj32ELN7rocprim17ROCPRIM_304000_NS16warp_load_methodE0E15HIP_vector_typeIfLj2EEEvPT3_S6_,@function
_Z16warp_load_kernelILj1024ELj4ELj32ELN7rocprim17ROCPRIM_304000_NS16warp_load_methodE0E15HIP_vector_typeIfLj2EEEvPT3_S6_: ; @_Z16warp_load_kernelILj1024ELj4ELj32ELN7rocprim17ROCPRIM_304000_NS16warp_load_methodE0E15HIP_vector_typeIfLj2EEEvPT3_S6_
; %bb.0:
	s_load_dwordx4 s[0:3], s[4:5], 0x0
	v_lshlrev_b32_e32 v10, 5, v0
	v_mbcnt_lo_u32_b32 v2, -1, 0
	v_and_b32_e32 v0, 0x7c00, v10
	v_mbcnt_hi_u32_b32 v2, -1, v2
	s_waitcnt lgkmcnt(0)
	v_mov_b32_e32 v1, s1
	v_add_co_u32_e32 v0, vcc, s0, v0
	v_lshlrev_b32_e32 v2, 5, v2
	v_addc_co_u32_e32 v1, vcc, 0, v1, vcc
	v_and_b32_e32 v2, 0x3e0, v2
	v_add_co_u32_e32 v8, vcc, v0, v2
	v_addc_co_u32_e32 v9, vcc, 0, v1, vcc
	global_load_dwordx4 v[0:3], v[8:9], off
	global_load_dwordx4 v[4:7], v[8:9], off offset:16
	s_waitcnt vmcnt(1)
	global_store_dwordx4 v10, v[0:3], s[2:3]
	s_waitcnt vmcnt(1)
	global_store_dwordx4 v10, v[4:7], s[2:3] offset:16
	s_endpgm
	.section	.rodata,"a",@progbits
	.p2align	6, 0x0
	.amdhsa_kernel _Z16warp_load_kernelILj1024ELj4ELj32ELN7rocprim17ROCPRIM_304000_NS16warp_load_methodE0E15HIP_vector_typeIfLj2EEEvPT3_S6_
		.amdhsa_group_segment_fixed_size 0
		.amdhsa_private_segment_fixed_size 0
		.amdhsa_kernarg_size 16
		.amdhsa_user_sgpr_count 6
		.amdhsa_user_sgpr_private_segment_buffer 1
		.amdhsa_user_sgpr_dispatch_ptr 0
		.amdhsa_user_sgpr_queue_ptr 0
		.amdhsa_user_sgpr_kernarg_segment_ptr 1
		.amdhsa_user_sgpr_dispatch_id 0
		.amdhsa_user_sgpr_flat_scratch_init 0
		.amdhsa_user_sgpr_kernarg_preload_length 0
		.amdhsa_user_sgpr_kernarg_preload_offset 0
		.amdhsa_user_sgpr_private_segment_size 0
		.amdhsa_uses_dynamic_stack 0
		.amdhsa_system_sgpr_private_segment_wavefront_offset 0
		.amdhsa_system_sgpr_workgroup_id_x 1
		.amdhsa_system_sgpr_workgroup_id_y 0
		.amdhsa_system_sgpr_workgroup_id_z 0
		.amdhsa_system_sgpr_workgroup_info 0
		.amdhsa_system_vgpr_workitem_id 0
		.amdhsa_next_free_vgpr 11
		.amdhsa_next_free_sgpr 6
		.amdhsa_accum_offset 12
		.amdhsa_reserve_vcc 1
		.amdhsa_reserve_flat_scratch 0
		.amdhsa_float_round_mode_32 0
		.amdhsa_float_round_mode_16_64 0
		.amdhsa_float_denorm_mode_32 3
		.amdhsa_float_denorm_mode_16_64 3
		.amdhsa_dx10_clamp 1
		.amdhsa_ieee_mode 1
		.amdhsa_fp16_overflow 0
		.amdhsa_tg_split 0
		.amdhsa_exception_fp_ieee_invalid_op 0
		.amdhsa_exception_fp_denorm_src 0
		.amdhsa_exception_fp_ieee_div_zero 0
		.amdhsa_exception_fp_ieee_overflow 0
		.amdhsa_exception_fp_ieee_underflow 0
		.amdhsa_exception_fp_ieee_inexact 0
		.amdhsa_exception_int_div_zero 0
	.end_amdhsa_kernel
	.section	.text._Z16warp_load_kernelILj1024ELj4ELj32ELN7rocprim17ROCPRIM_304000_NS16warp_load_methodE0E15HIP_vector_typeIfLj2EEEvPT3_S6_,"axG",@progbits,_Z16warp_load_kernelILj1024ELj4ELj32ELN7rocprim17ROCPRIM_304000_NS16warp_load_methodE0E15HIP_vector_typeIfLj2EEEvPT3_S6_,comdat
.Lfunc_end23:
	.size	_Z16warp_load_kernelILj1024ELj4ELj32ELN7rocprim17ROCPRIM_304000_NS16warp_load_methodE0E15HIP_vector_typeIfLj2EEEvPT3_S6_, .Lfunc_end23-_Z16warp_load_kernelILj1024ELj4ELj32ELN7rocprim17ROCPRIM_304000_NS16warp_load_methodE0E15HIP_vector_typeIfLj2EEEvPT3_S6_
                                        ; -- End function
	.section	.AMDGPU.csdata,"",@progbits
; Kernel info:
; codeLenInByte = 116
; NumSgprs: 10
; NumVgprs: 11
; NumAgprs: 0
; TotalNumVgprs: 11
; ScratchSize: 0
; MemoryBound: 0
; FloatMode: 240
; IeeeMode: 1
; LDSByteSize: 0 bytes/workgroup (compile time only)
; SGPRBlocks: 1
; VGPRBlocks: 1
; NumSGPRsForWavesPerEU: 10
; NumVGPRsForWavesPerEU: 11
; AccumOffset: 12
; Occupancy: 8
; WaveLimiterHint : 0
; COMPUTE_PGM_RSRC2:SCRATCH_EN: 0
; COMPUTE_PGM_RSRC2:USER_SGPR: 6
; COMPUTE_PGM_RSRC2:TRAP_HANDLER: 0
; COMPUTE_PGM_RSRC2:TGID_X_EN: 1
; COMPUTE_PGM_RSRC2:TGID_Y_EN: 0
; COMPUTE_PGM_RSRC2:TGID_Z_EN: 0
; COMPUTE_PGM_RSRC2:TIDIG_COMP_CNT: 0
; COMPUTE_PGM_RSRC3_GFX90A:ACCUM_OFFSET: 2
; COMPUTE_PGM_RSRC3_GFX90A:TG_SPLIT: 0
	.section	.text._Z16warp_load_kernelILj1024ELj4ELj64ELN7rocprim17ROCPRIM_304000_NS16warp_load_methodE3EiEvPT3_S4_,"axG",@progbits,_Z16warp_load_kernelILj1024ELj4ELj64ELN7rocprim17ROCPRIM_304000_NS16warp_load_methodE3EiEvPT3_S4_,comdat
	.protected	_Z16warp_load_kernelILj1024ELj4ELj64ELN7rocprim17ROCPRIM_304000_NS16warp_load_methodE3EiEvPT3_S4_ ; -- Begin function _Z16warp_load_kernelILj1024ELj4ELj64ELN7rocprim17ROCPRIM_304000_NS16warp_load_methodE3EiEvPT3_S4_
	.globl	_Z16warp_load_kernelILj1024ELj4ELj64ELN7rocprim17ROCPRIM_304000_NS16warp_load_methodE3EiEvPT3_S4_
	.p2align	8
	.type	_Z16warp_load_kernelILj1024ELj4ELj64ELN7rocprim17ROCPRIM_304000_NS16warp_load_methodE3EiEvPT3_S4_,@function
_Z16warp_load_kernelILj1024ELj4ELj64ELN7rocprim17ROCPRIM_304000_NS16warp_load_methodE3EiEvPT3_S4_: ; @_Z16warp_load_kernelILj1024ELj4ELj64ELN7rocprim17ROCPRIM_304000_NS16warp_load_methodE3EiEvPT3_S4_
; %bb.0:
	s_load_dwordx4 s[0:3], s[4:5], 0x0
	v_lshlrev_b32_e32 v4, 4, v0
	v_and_b32_e32 v2, 0x3c00, v4
	v_mbcnt_lo_u32_b32 v3, -1, 0
	v_mbcnt_hi_u32_b32 v3, -1, v3
	s_waitcnt lgkmcnt(0)
	v_mov_b32_e32 v0, s1
	v_add_co_u32_e32 v1, vcc, s0, v2
	v_addc_co_u32_e32 v0, vcc, 0, v0, vcc
	v_lshlrev_b32_e32 v5, 2, v3
	v_add_co_u32_e32 v1, vcc, v1, v5
	v_lshlrev_b32_e32 v3, 4, v3
	v_addc_co_u32_e32 v6, vcc, 0, v0, vcc
	v_and_b32_e32 v0, 0x400, v3
	v_add_co_u32_e32 v0, vcc, v1, v0
	v_addc_co_u32_e32 v1, vcc, 0, v6, vcc
	global_load_dword v6, v[0:1], off
	global_load_dword v7, v[0:1], off offset:256
	global_load_dword v8, v[0:1], off offset:512
	;; [unrolled: 1-line block ×3, first 2 shown]
	v_or_b32_e32 v0, v2, v5
	v_add_u32_e32 v1, v2, v3
	s_waitcnt vmcnt(2)
	ds_write2st64_b32 v0, v6, v7 offset1:1
	s_waitcnt vmcnt(0)
	ds_write2st64_b32 v0, v8, v9 offset0:2 offset1:3
	; wave barrier
	ds_read_b128 v[0:3], v1
	s_waitcnt lgkmcnt(0)
	global_store_dwordx4 v4, v[0:3], s[2:3]
	s_endpgm
	.section	.rodata,"a",@progbits
	.p2align	6, 0x0
	.amdhsa_kernel _Z16warp_load_kernelILj1024ELj4ELj64ELN7rocprim17ROCPRIM_304000_NS16warp_load_methodE3EiEvPT3_S4_
		.amdhsa_group_segment_fixed_size 16384
		.amdhsa_private_segment_fixed_size 0
		.amdhsa_kernarg_size 16
		.amdhsa_user_sgpr_count 6
		.amdhsa_user_sgpr_private_segment_buffer 1
		.amdhsa_user_sgpr_dispatch_ptr 0
		.amdhsa_user_sgpr_queue_ptr 0
		.amdhsa_user_sgpr_kernarg_segment_ptr 1
		.amdhsa_user_sgpr_dispatch_id 0
		.amdhsa_user_sgpr_flat_scratch_init 0
		.amdhsa_user_sgpr_kernarg_preload_length 0
		.amdhsa_user_sgpr_kernarg_preload_offset 0
		.amdhsa_user_sgpr_private_segment_size 0
		.amdhsa_uses_dynamic_stack 0
		.amdhsa_system_sgpr_private_segment_wavefront_offset 0
		.amdhsa_system_sgpr_workgroup_id_x 1
		.amdhsa_system_sgpr_workgroup_id_y 0
		.amdhsa_system_sgpr_workgroup_id_z 0
		.amdhsa_system_sgpr_workgroup_info 0
		.amdhsa_system_vgpr_workitem_id 0
		.amdhsa_next_free_vgpr 10
		.amdhsa_next_free_sgpr 6
		.amdhsa_accum_offset 12
		.amdhsa_reserve_vcc 1
		.amdhsa_reserve_flat_scratch 0
		.amdhsa_float_round_mode_32 0
		.amdhsa_float_round_mode_16_64 0
		.amdhsa_float_denorm_mode_32 3
		.amdhsa_float_denorm_mode_16_64 3
		.amdhsa_dx10_clamp 1
		.amdhsa_ieee_mode 1
		.amdhsa_fp16_overflow 0
		.amdhsa_tg_split 0
		.amdhsa_exception_fp_ieee_invalid_op 0
		.amdhsa_exception_fp_denorm_src 0
		.amdhsa_exception_fp_ieee_div_zero 0
		.amdhsa_exception_fp_ieee_overflow 0
		.amdhsa_exception_fp_ieee_underflow 0
		.amdhsa_exception_fp_ieee_inexact 0
		.amdhsa_exception_int_div_zero 0
	.end_amdhsa_kernel
	.section	.text._Z16warp_load_kernelILj1024ELj4ELj64ELN7rocprim17ROCPRIM_304000_NS16warp_load_methodE3EiEvPT3_S4_,"axG",@progbits,_Z16warp_load_kernelILj1024ELj4ELj64ELN7rocprim17ROCPRIM_304000_NS16warp_load_methodE3EiEvPT3_S4_,comdat
.Lfunc_end24:
	.size	_Z16warp_load_kernelILj1024ELj4ELj64ELN7rocprim17ROCPRIM_304000_NS16warp_load_methodE3EiEvPT3_S4_, .Lfunc_end24-_Z16warp_load_kernelILj1024ELj4ELj64ELN7rocprim17ROCPRIM_304000_NS16warp_load_methodE3EiEvPT3_S4_
                                        ; -- End function
	.section	.AMDGPU.csdata,"",@progbits
; Kernel info:
; codeLenInByte = 172
; NumSgprs: 10
; NumVgprs: 10
; NumAgprs: 0
; TotalNumVgprs: 10
; ScratchSize: 0
; MemoryBound: 0
; FloatMode: 240
; IeeeMode: 1
; LDSByteSize: 16384 bytes/workgroup (compile time only)
; SGPRBlocks: 1
; VGPRBlocks: 1
; NumSGPRsForWavesPerEU: 10
; NumVGPRsForWavesPerEU: 10
; AccumOffset: 12
; Occupancy: 8
; WaveLimiterHint : 1
; COMPUTE_PGM_RSRC2:SCRATCH_EN: 0
; COMPUTE_PGM_RSRC2:USER_SGPR: 6
; COMPUTE_PGM_RSRC2:TRAP_HANDLER: 0
; COMPUTE_PGM_RSRC2:TGID_X_EN: 1
; COMPUTE_PGM_RSRC2:TGID_Y_EN: 0
; COMPUTE_PGM_RSRC2:TGID_Z_EN: 0
; COMPUTE_PGM_RSRC2:TIDIG_COMP_CNT: 0
; COMPUTE_PGM_RSRC3_GFX90A:ACCUM_OFFSET: 2
; COMPUTE_PGM_RSRC3_GFX90A:TG_SPLIT: 0
	.section	.text._Z16warp_load_kernelILj1024ELj4ELj64ELN7rocprim17ROCPRIM_304000_NS16warp_load_methodE2EiEvPT3_S4_,"axG",@progbits,_Z16warp_load_kernelILj1024ELj4ELj64ELN7rocprim17ROCPRIM_304000_NS16warp_load_methodE2EiEvPT3_S4_,comdat
	.protected	_Z16warp_load_kernelILj1024ELj4ELj64ELN7rocprim17ROCPRIM_304000_NS16warp_load_methodE2EiEvPT3_S4_ ; -- Begin function _Z16warp_load_kernelILj1024ELj4ELj64ELN7rocprim17ROCPRIM_304000_NS16warp_load_methodE2EiEvPT3_S4_
	.globl	_Z16warp_load_kernelILj1024ELj4ELj64ELN7rocprim17ROCPRIM_304000_NS16warp_load_methodE2EiEvPT3_S4_
	.p2align	8
	.type	_Z16warp_load_kernelILj1024ELj4ELj64ELN7rocprim17ROCPRIM_304000_NS16warp_load_methodE2EiEvPT3_S4_,@function
_Z16warp_load_kernelILj1024ELj4ELj64ELN7rocprim17ROCPRIM_304000_NS16warp_load_methodE2EiEvPT3_S4_: ; @_Z16warp_load_kernelILj1024ELj4ELj64ELN7rocprim17ROCPRIM_304000_NS16warp_load_methodE2EiEvPT3_S4_
; %bb.0:
	s_load_dwordx4 s[0:3], s[4:5], 0x0
	v_lshlrev_b32_e32 v4, 4, v0
	v_and_b32_e32 v0, 0x3c00, v4
	v_mbcnt_lo_u32_b32 v2, -1, 0
	v_mbcnt_hi_u32_b32 v2, -1, v2
	s_waitcnt lgkmcnt(0)
	v_mov_b32_e32 v1, s1
	v_add_co_u32_e32 v0, vcc, s0, v0
	v_addc_co_u32_e32 v1, vcc, 0, v1, vcc
	v_lshlrev_b32_e32 v2, 4, v2
	v_add_co_u32_e32 v0, vcc, v0, v2
	v_addc_co_u32_e32 v1, vcc, 0, v1, vcc
	global_load_dwordx4 v[0:3], v[0:1], off
	s_waitcnt vmcnt(0)
	global_store_dwordx4 v4, v[0:3], s[2:3]
	s_endpgm
	.section	.rodata,"a",@progbits
	.p2align	6, 0x0
	.amdhsa_kernel _Z16warp_load_kernelILj1024ELj4ELj64ELN7rocprim17ROCPRIM_304000_NS16warp_load_methodE2EiEvPT3_S4_
		.amdhsa_group_segment_fixed_size 0
		.amdhsa_private_segment_fixed_size 0
		.amdhsa_kernarg_size 16
		.amdhsa_user_sgpr_count 6
		.amdhsa_user_sgpr_private_segment_buffer 1
		.amdhsa_user_sgpr_dispatch_ptr 0
		.amdhsa_user_sgpr_queue_ptr 0
		.amdhsa_user_sgpr_kernarg_segment_ptr 1
		.amdhsa_user_sgpr_dispatch_id 0
		.amdhsa_user_sgpr_flat_scratch_init 0
		.amdhsa_user_sgpr_kernarg_preload_length 0
		.amdhsa_user_sgpr_kernarg_preload_offset 0
		.amdhsa_user_sgpr_private_segment_size 0
		.amdhsa_uses_dynamic_stack 0
		.amdhsa_system_sgpr_private_segment_wavefront_offset 0
		.amdhsa_system_sgpr_workgroup_id_x 1
		.amdhsa_system_sgpr_workgroup_id_y 0
		.amdhsa_system_sgpr_workgroup_id_z 0
		.amdhsa_system_sgpr_workgroup_info 0
		.amdhsa_system_vgpr_workitem_id 0
		.amdhsa_next_free_vgpr 5
		.amdhsa_next_free_sgpr 6
		.amdhsa_accum_offset 8
		.amdhsa_reserve_vcc 1
		.amdhsa_reserve_flat_scratch 0
		.amdhsa_float_round_mode_32 0
		.amdhsa_float_round_mode_16_64 0
		.amdhsa_float_denorm_mode_32 3
		.amdhsa_float_denorm_mode_16_64 3
		.amdhsa_dx10_clamp 1
		.amdhsa_ieee_mode 1
		.amdhsa_fp16_overflow 0
		.amdhsa_tg_split 0
		.amdhsa_exception_fp_ieee_invalid_op 0
		.amdhsa_exception_fp_denorm_src 0
		.amdhsa_exception_fp_ieee_div_zero 0
		.amdhsa_exception_fp_ieee_overflow 0
		.amdhsa_exception_fp_ieee_underflow 0
		.amdhsa_exception_fp_ieee_inexact 0
		.amdhsa_exception_int_div_zero 0
	.end_amdhsa_kernel
	.section	.text._Z16warp_load_kernelILj1024ELj4ELj64ELN7rocprim17ROCPRIM_304000_NS16warp_load_methodE2EiEvPT3_S4_,"axG",@progbits,_Z16warp_load_kernelILj1024ELj4ELj64ELN7rocprim17ROCPRIM_304000_NS16warp_load_methodE2EiEvPT3_S4_,comdat
.Lfunc_end25:
	.size	_Z16warp_load_kernelILj1024ELj4ELj64ELN7rocprim17ROCPRIM_304000_NS16warp_load_methodE2EiEvPT3_S4_, .Lfunc_end25-_Z16warp_load_kernelILj1024ELj4ELj64ELN7rocprim17ROCPRIM_304000_NS16warp_load_methodE2EiEvPT3_S4_
                                        ; -- End function
	.section	.AMDGPU.csdata,"",@progbits
; Kernel info:
; codeLenInByte = 88
; NumSgprs: 10
; NumVgprs: 5
; NumAgprs: 0
; TotalNumVgprs: 5
; ScratchSize: 0
; MemoryBound: 0
; FloatMode: 240
; IeeeMode: 1
; LDSByteSize: 0 bytes/workgroup (compile time only)
; SGPRBlocks: 1
; VGPRBlocks: 0
; NumSGPRsForWavesPerEU: 10
; NumVGPRsForWavesPerEU: 5
; AccumOffset: 8
; Occupancy: 8
; WaveLimiterHint : 0
; COMPUTE_PGM_RSRC2:SCRATCH_EN: 0
; COMPUTE_PGM_RSRC2:USER_SGPR: 6
; COMPUTE_PGM_RSRC2:TRAP_HANDLER: 0
; COMPUTE_PGM_RSRC2:TGID_X_EN: 1
; COMPUTE_PGM_RSRC2:TGID_Y_EN: 0
; COMPUTE_PGM_RSRC2:TGID_Z_EN: 0
; COMPUTE_PGM_RSRC2:TIDIG_COMP_CNT: 0
; COMPUTE_PGM_RSRC3_GFX90A:ACCUM_OFFSET: 1
; COMPUTE_PGM_RSRC3_GFX90A:TG_SPLIT: 0
	.section	.text._Z16warp_load_kernelILj1024ELj4ELj64ELN7rocprim17ROCPRIM_304000_NS16warp_load_methodE1EiEvPT3_S4_,"axG",@progbits,_Z16warp_load_kernelILj1024ELj4ELj64ELN7rocprim17ROCPRIM_304000_NS16warp_load_methodE1EiEvPT3_S4_,comdat
	.protected	_Z16warp_load_kernelILj1024ELj4ELj64ELN7rocprim17ROCPRIM_304000_NS16warp_load_methodE1EiEvPT3_S4_ ; -- Begin function _Z16warp_load_kernelILj1024ELj4ELj64ELN7rocprim17ROCPRIM_304000_NS16warp_load_methodE1EiEvPT3_S4_
	.globl	_Z16warp_load_kernelILj1024ELj4ELj64ELN7rocprim17ROCPRIM_304000_NS16warp_load_methodE1EiEvPT3_S4_
	.p2align	8
	.type	_Z16warp_load_kernelILj1024ELj4ELj64ELN7rocprim17ROCPRIM_304000_NS16warp_load_methodE1EiEvPT3_S4_,@function
_Z16warp_load_kernelILj1024ELj4ELj64ELN7rocprim17ROCPRIM_304000_NS16warp_load_methodE1EiEvPT3_S4_: ; @_Z16warp_load_kernelILj1024ELj4ELj64ELN7rocprim17ROCPRIM_304000_NS16warp_load_methodE1EiEvPT3_S4_
; %bb.0:
	s_load_dwordx4 s[0:3], s[4:5], 0x0
	v_lshlrev_b32_e32 v6, 4, v0
	v_and_b32_e32 v0, 0x3c00, v6
	v_mbcnt_lo_u32_b32 v2, -1, 0
	v_mbcnt_hi_u32_b32 v2, -1, v2
	s_waitcnt lgkmcnt(0)
	v_mov_b32_e32 v1, s1
	v_add_co_u32_e32 v0, vcc, s0, v0
	v_addc_co_u32_e32 v1, vcc, 0, v1, vcc
	v_lshlrev_b32_e32 v3, 2, v2
	v_add_co_u32_e32 v0, vcc, v0, v3
	v_lshlrev_b32_e32 v2, 4, v2
	v_addc_co_u32_e32 v1, vcc, 0, v1, vcc
	v_and_b32_e32 v2, 0x400, v2
	v_add_co_u32_e32 v4, vcc, v0, v2
	v_addc_co_u32_e32 v5, vcc, 0, v1, vcc
	global_load_dword v0, v[4:5], off
	global_load_dword v1, v[4:5], off offset:256
	global_load_dword v2, v[4:5], off offset:512
	;; [unrolled: 1-line block ×3, first 2 shown]
	s_waitcnt vmcnt(0)
	global_store_dwordx4 v6, v[0:3], s[2:3]
	s_endpgm
	.section	.rodata,"a",@progbits
	.p2align	6, 0x0
	.amdhsa_kernel _Z16warp_load_kernelILj1024ELj4ELj64ELN7rocprim17ROCPRIM_304000_NS16warp_load_methodE1EiEvPT3_S4_
		.amdhsa_group_segment_fixed_size 0
		.amdhsa_private_segment_fixed_size 0
		.amdhsa_kernarg_size 16
		.amdhsa_user_sgpr_count 6
		.amdhsa_user_sgpr_private_segment_buffer 1
		.amdhsa_user_sgpr_dispatch_ptr 0
		.amdhsa_user_sgpr_queue_ptr 0
		.amdhsa_user_sgpr_kernarg_segment_ptr 1
		.amdhsa_user_sgpr_dispatch_id 0
		.amdhsa_user_sgpr_flat_scratch_init 0
		.amdhsa_user_sgpr_kernarg_preload_length 0
		.amdhsa_user_sgpr_kernarg_preload_offset 0
		.amdhsa_user_sgpr_private_segment_size 0
		.amdhsa_uses_dynamic_stack 0
		.amdhsa_system_sgpr_private_segment_wavefront_offset 0
		.amdhsa_system_sgpr_workgroup_id_x 1
		.amdhsa_system_sgpr_workgroup_id_y 0
		.amdhsa_system_sgpr_workgroup_id_z 0
		.amdhsa_system_sgpr_workgroup_info 0
		.amdhsa_system_vgpr_workitem_id 0
		.amdhsa_next_free_vgpr 7
		.amdhsa_next_free_sgpr 6
		.amdhsa_accum_offset 8
		.amdhsa_reserve_vcc 1
		.amdhsa_reserve_flat_scratch 0
		.amdhsa_float_round_mode_32 0
		.amdhsa_float_round_mode_16_64 0
		.amdhsa_float_denorm_mode_32 3
		.amdhsa_float_denorm_mode_16_64 3
		.amdhsa_dx10_clamp 1
		.amdhsa_ieee_mode 1
		.amdhsa_fp16_overflow 0
		.amdhsa_tg_split 0
		.amdhsa_exception_fp_ieee_invalid_op 0
		.amdhsa_exception_fp_denorm_src 0
		.amdhsa_exception_fp_ieee_div_zero 0
		.amdhsa_exception_fp_ieee_overflow 0
		.amdhsa_exception_fp_ieee_underflow 0
		.amdhsa_exception_fp_ieee_inexact 0
		.amdhsa_exception_int_div_zero 0
	.end_amdhsa_kernel
	.section	.text._Z16warp_load_kernelILj1024ELj4ELj64ELN7rocprim17ROCPRIM_304000_NS16warp_load_methodE1EiEvPT3_S4_,"axG",@progbits,_Z16warp_load_kernelILj1024ELj4ELj64ELN7rocprim17ROCPRIM_304000_NS16warp_load_methodE1EiEvPT3_S4_,comdat
.Lfunc_end26:
	.size	_Z16warp_load_kernelILj1024ELj4ELj64ELN7rocprim17ROCPRIM_304000_NS16warp_load_methodE1EiEvPT3_S4_, .Lfunc_end26-_Z16warp_load_kernelILj1024ELj4ELj64ELN7rocprim17ROCPRIM_304000_NS16warp_load_methodE1EiEvPT3_S4_
                                        ; -- End function
	.section	.AMDGPU.csdata,"",@progbits
; Kernel info:
; codeLenInByte = 132
; NumSgprs: 10
; NumVgprs: 7
; NumAgprs: 0
; TotalNumVgprs: 7
; ScratchSize: 0
; MemoryBound: 0
; FloatMode: 240
; IeeeMode: 1
; LDSByteSize: 0 bytes/workgroup (compile time only)
; SGPRBlocks: 1
; VGPRBlocks: 0
; NumSGPRsForWavesPerEU: 10
; NumVGPRsForWavesPerEU: 7
; AccumOffset: 8
; Occupancy: 8
; WaveLimiterHint : 1
; COMPUTE_PGM_RSRC2:SCRATCH_EN: 0
; COMPUTE_PGM_RSRC2:USER_SGPR: 6
; COMPUTE_PGM_RSRC2:TRAP_HANDLER: 0
; COMPUTE_PGM_RSRC2:TGID_X_EN: 1
; COMPUTE_PGM_RSRC2:TGID_Y_EN: 0
; COMPUTE_PGM_RSRC2:TGID_Z_EN: 0
; COMPUTE_PGM_RSRC2:TIDIG_COMP_CNT: 0
; COMPUTE_PGM_RSRC3_GFX90A:ACCUM_OFFSET: 1
; COMPUTE_PGM_RSRC3_GFX90A:TG_SPLIT: 0
	.section	.text._Z16warp_load_kernelILj1024ELj4ELj64ELN7rocprim17ROCPRIM_304000_NS16warp_load_methodE0EiEvPT3_S4_,"axG",@progbits,_Z16warp_load_kernelILj1024ELj4ELj64ELN7rocprim17ROCPRIM_304000_NS16warp_load_methodE0EiEvPT3_S4_,comdat
	.protected	_Z16warp_load_kernelILj1024ELj4ELj64ELN7rocprim17ROCPRIM_304000_NS16warp_load_methodE0EiEvPT3_S4_ ; -- Begin function _Z16warp_load_kernelILj1024ELj4ELj64ELN7rocprim17ROCPRIM_304000_NS16warp_load_methodE0EiEvPT3_S4_
	.globl	_Z16warp_load_kernelILj1024ELj4ELj64ELN7rocprim17ROCPRIM_304000_NS16warp_load_methodE0EiEvPT3_S4_
	.p2align	8
	.type	_Z16warp_load_kernelILj1024ELj4ELj64ELN7rocprim17ROCPRIM_304000_NS16warp_load_methodE0EiEvPT3_S4_,@function
_Z16warp_load_kernelILj1024ELj4ELj64ELN7rocprim17ROCPRIM_304000_NS16warp_load_methodE0EiEvPT3_S4_: ; @_Z16warp_load_kernelILj1024ELj4ELj64ELN7rocprim17ROCPRIM_304000_NS16warp_load_methodE0EiEvPT3_S4_
; %bb.0:
	s_load_dwordx4 s[0:3], s[4:5], 0x0
	v_lshlrev_b32_e32 v4, 4, v0
	v_and_b32_e32 v0, 0x3c00, v4
	v_mbcnt_lo_u32_b32 v2, -1, 0
	v_mbcnt_hi_u32_b32 v2, -1, v2
	s_waitcnt lgkmcnt(0)
	v_mov_b32_e32 v1, s1
	v_add_co_u32_e32 v0, vcc, s0, v0
	v_addc_co_u32_e32 v1, vcc, 0, v1, vcc
	v_lshlrev_b32_e32 v2, 4, v2
	v_add_co_u32_e32 v0, vcc, v0, v2
	v_addc_co_u32_e32 v1, vcc, 0, v1, vcc
	global_load_dwordx4 v[0:3], v[0:1], off
	s_waitcnt vmcnt(0)
	global_store_dwordx4 v4, v[0:3], s[2:3]
	s_endpgm
	.section	.rodata,"a",@progbits
	.p2align	6, 0x0
	.amdhsa_kernel _Z16warp_load_kernelILj1024ELj4ELj64ELN7rocprim17ROCPRIM_304000_NS16warp_load_methodE0EiEvPT3_S4_
		.amdhsa_group_segment_fixed_size 0
		.amdhsa_private_segment_fixed_size 0
		.amdhsa_kernarg_size 16
		.amdhsa_user_sgpr_count 6
		.amdhsa_user_sgpr_private_segment_buffer 1
		.amdhsa_user_sgpr_dispatch_ptr 0
		.amdhsa_user_sgpr_queue_ptr 0
		.amdhsa_user_sgpr_kernarg_segment_ptr 1
		.amdhsa_user_sgpr_dispatch_id 0
		.amdhsa_user_sgpr_flat_scratch_init 0
		.amdhsa_user_sgpr_kernarg_preload_length 0
		.amdhsa_user_sgpr_kernarg_preload_offset 0
		.amdhsa_user_sgpr_private_segment_size 0
		.amdhsa_uses_dynamic_stack 0
		.amdhsa_system_sgpr_private_segment_wavefront_offset 0
		.amdhsa_system_sgpr_workgroup_id_x 1
		.amdhsa_system_sgpr_workgroup_id_y 0
		.amdhsa_system_sgpr_workgroup_id_z 0
		.amdhsa_system_sgpr_workgroup_info 0
		.amdhsa_system_vgpr_workitem_id 0
		.amdhsa_next_free_vgpr 5
		.amdhsa_next_free_sgpr 6
		.amdhsa_accum_offset 8
		.amdhsa_reserve_vcc 1
		.amdhsa_reserve_flat_scratch 0
		.amdhsa_float_round_mode_32 0
		.amdhsa_float_round_mode_16_64 0
		.amdhsa_float_denorm_mode_32 3
		.amdhsa_float_denorm_mode_16_64 3
		.amdhsa_dx10_clamp 1
		.amdhsa_ieee_mode 1
		.amdhsa_fp16_overflow 0
		.amdhsa_tg_split 0
		.amdhsa_exception_fp_ieee_invalid_op 0
		.amdhsa_exception_fp_denorm_src 0
		.amdhsa_exception_fp_ieee_div_zero 0
		.amdhsa_exception_fp_ieee_overflow 0
		.amdhsa_exception_fp_ieee_underflow 0
		.amdhsa_exception_fp_ieee_inexact 0
		.amdhsa_exception_int_div_zero 0
	.end_amdhsa_kernel
	.section	.text._Z16warp_load_kernelILj1024ELj4ELj64ELN7rocprim17ROCPRIM_304000_NS16warp_load_methodE0EiEvPT3_S4_,"axG",@progbits,_Z16warp_load_kernelILj1024ELj4ELj64ELN7rocprim17ROCPRIM_304000_NS16warp_load_methodE0EiEvPT3_S4_,comdat
.Lfunc_end27:
	.size	_Z16warp_load_kernelILj1024ELj4ELj64ELN7rocprim17ROCPRIM_304000_NS16warp_load_methodE0EiEvPT3_S4_, .Lfunc_end27-_Z16warp_load_kernelILj1024ELj4ELj64ELN7rocprim17ROCPRIM_304000_NS16warp_load_methodE0EiEvPT3_S4_
                                        ; -- End function
	.section	.AMDGPU.csdata,"",@progbits
; Kernel info:
; codeLenInByte = 88
; NumSgprs: 10
; NumVgprs: 5
; NumAgprs: 0
; TotalNumVgprs: 5
; ScratchSize: 0
; MemoryBound: 0
; FloatMode: 240
; IeeeMode: 1
; LDSByteSize: 0 bytes/workgroup (compile time only)
; SGPRBlocks: 1
; VGPRBlocks: 0
; NumSGPRsForWavesPerEU: 10
; NumVGPRsForWavesPerEU: 5
; AccumOffset: 8
; Occupancy: 8
; WaveLimiterHint : 0
; COMPUTE_PGM_RSRC2:SCRATCH_EN: 0
; COMPUTE_PGM_RSRC2:USER_SGPR: 6
; COMPUTE_PGM_RSRC2:TRAP_HANDLER: 0
; COMPUTE_PGM_RSRC2:TGID_X_EN: 1
; COMPUTE_PGM_RSRC2:TGID_Y_EN: 0
; COMPUTE_PGM_RSRC2:TGID_Z_EN: 0
; COMPUTE_PGM_RSRC2:TIDIG_COMP_CNT: 0
; COMPUTE_PGM_RSRC3_GFX90A:ACCUM_OFFSET: 1
; COMPUTE_PGM_RSRC3_GFX90A:TG_SPLIT: 0
	.section	.text._Z16warp_load_kernelILj1024ELj4ELj32ELN7rocprim17ROCPRIM_304000_NS16warp_load_methodE3EiEvPT3_S4_,"axG",@progbits,_Z16warp_load_kernelILj1024ELj4ELj32ELN7rocprim17ROCPRIM_304000_NS16warp_load_methodE3EiEvPT3_S4_,comdat
	.protected	_Z16warp_load_kernelILj1024ELj4ELj32ELN7rocprim17ROCPRIM_304000_NS16warp_load_methodE3EiEvPT3_S4_ ; -- Begin function _Z16warp_load_kernelILj1024ELj4ELj32ELN7rocprim17ROCPRIM_304000_NS16warp_load_methodE3EiEvPT3_S4_
	.globl	_Z16warp_load_kernelILj1024ELj4ELj32ELN7rocprim17ROCPRIM_304000_NS16warp_load_methodE3EiEvPT3_S4_
	.p2align	8
	.type	_Z16warp_load_kernelILj1024ELj4ELj32ELN7rocprim17ROCPRIM_304000_NS16warp_load_methodE3EiEvPT3_S4_,@function
_Z16warp_load_kernelILj1024ELj4ELj32ELN7rocprim17ROCPRIM_304000_NS16warp_load_methodE3EiEvPT3_S4_: ; @_Z16warp_load_kernelILj1024ELj4ELj32ELN7rocprim17ROCPRIM_304000_NS16warp_load_methodE3EiEvPT3_S4_
; %bb.0:
	s_load_dwordx4 s[0:3], s[4:5], 0x0
	v_lshlrev_b32_e32 v4, 4, v0
	v_and_b32_e32 v2, 0x3e00, v4
	s_waitcnt lgkmcnt(0)
	v_mov_b32_e32 v0, s1
	v_add_co_u32_e32 v1, vcc, s0, v2
	v_addc_co_u32_e32 v3, vcc, 0, v0, vcc
	v_mbcnt_lo_u32_b32 v0, -1, 0
	v_mbcnt_hi_u32_b32 v0, -1, v0
	v_and_b32_e32 v5, 31, v0
	v_lshlrev_b32_e32 v6, 2, v5
	v_add_co_u32_e32 v0, vcc, v1, v6
	v_addc_co_u32_e32 v1, vcc, 0, v3, vcc
	global_load_dword v3, v[0:1], off
	global_load_dword v7, v[0:1], off offset:128
	global_load_dword v8, v[0:1], off offset:256
	;; [unrolled: 1-line block ×3, first 2 shown]
	v_or_b32_e32 v0, v2, v6
	v_mad_u32_u24 v1, v5, 12, v0
	s_waitcnt vmcnt(2)
	ds_write2_b32 v0, v3, v7 offset1:32
	s_waitcnt vmcnt(0)
	ds_write2_b32 v0, v8, v9 offset0:64 offset1:96
	; wave barrier
	ds_read_b128 v[0:3], v1
	s_waitcnt lgkmcnt(0)
	global_store_dwordx4 v4, v[0:3], s[2:3]
	s_endpgm
	.section	.rodata,"a",@progbits
	.p2align	6, 0x0
	.amdhsa_kernel _Z16warp_load_kernelILj1024ELj4ELj32ELN7rocprim17ROCPRIM_304000_NS16warp_load_methodE3EiEvPT3_S4_
		.amdhsa_group_segment_fixed_size 16384
		.amdhsa_private_segment_fixed_size 0
		.amdhsa_kernarg_size 16
		.amdhsa_user_sgpr_count 6
		.amdhsa_user_sgpr_private_segment_buffer 1
		.amdhsa_user_sgpr_dispatch_ptr 0
		.amdhsa_user_sgpr_queue_ptr 0
		.amdhsa_user_sgpr_kernarg_segment_ptr 1
		.amdhsa_user_sgpr_dispatch_id 0
		.amdhsa_user_sgpr_flat_scratch_init 0
		.amdhsa_user_sgpr_kernarg_preload_length 0
		.amdhsa_user_sgpr_kernarg_preload_offset 0
		.amdhsa_user_sgpr_private_segment_size 0
		.amdhsa_uses_dynamic_stack 0
		.amdhsa_system_sgpr_private_segment_wavefront_offset 0
		.amdhsa_system_sgpr_workgroup_id_x 1
		.amdhsa_system_sgpr_workgroup_id_y 0
		.amdhsa_system_sgpr_workgroup_id_z 0
		.amdhsa_system_sgpr_workgroup_info 0
		.amdhsa_system_vgpr_workitem_id 0
		.amdhsa_next_free_vgpr 10
		.amdhsa_next_free_sgpr 6
		.amdhsa_accum_offset 12
		.amdhsa_reserve_vcc 1
		.amdhsa_reserve_flat_scratch 0
		.amdhsa_float_round_mode_32 0
		.amdhsa_float_round_mode_16_64 0
		.amdhsa_float_denorm_mode_32 3
		.amdhsa_float_denorm_mode_16_64 3
		.amdhsa_dx10_clamp 1
		.amdhsa_ieee_mode 1
		.amdhsa_fp16_overflow 0
		.amdhsa_tg_split 0
		.amdhsa_exception_fp_ieee_invalid_op 0
		.amdhsa_exception_fp_denorm_src 0
		.amdhsa_exception_fp_ieee_div_zero 0
		.amdhsa_exception_fp_ieee_overflow 0
		.amdhsa_exception_fp_ieee_underflow 0
		.amdhsa_exception_fp_ieee_inexact 0
		.amdhsa_exception_int_div_zero 0
	.end_amdhsa_kernel
	.section	.text._Z16warp_load_kernelILj1024ELj4ELj32ELN7rocprim17ROCPRIM_304000_NS16warp_load_methodE3EiEvPT3_S4_,"axG",@progbits,_Z16warp_load_kernelILj1024ELj4ELj32ELN7rocprim17ROCPRIM_304000_NS16warp_load_methodE3EiEvPT3_S4_,comdat
.Lfunc_end28:
	.size	_Z16warp_load_kernelILj1024ELj4ELj32ELN7rocprim17ROCPRIM_304000_NS16warp_load_methodE3EiEvPT3_S4_, .Lfunc_end28-_Z16warp_load_kernelILj1024ELj4ELj32ELN7rocprim17ROCPRIM_304000_NS16warp_load_methodE3EiEvPT3_S4_
                                        ; -- End function
	.section	.AMDGPU.csdata,"",@progbits
; Kernel info:
; codeLenInByte = 160
; NumSgprs: 10
; NumVgprs: 10
; NumAgprs: 0
; TotalNumVgprs: 10
; ScratchSize: 0
; MemoryBound: 0
; FloatMode: 240
; IeeeMode: 1
; LDSByteSize: 16384 bytes/workgroup (compile time only)
; SGPRBlocks: 1
; VGPRBlocks: 1
; NumSGPRsForWavesPerEU: 10
; NumVGPRsForWavesPerEU: 10
; AccumOffset: 12
; Occupancy: 8
; WaveLimiterHint : 1
; COMPUTE_PGM_RSRC2:SCRATCH_EN: 0
; COMPUTE_PGM_RSRC2:USER_SGPR: 6
; COMPUTE_PGM_RSRC2:TRAP_HANDLER: 0
; COMPUTE_PGM_RSRC2:TGID_X_EN: 1
; COMPUTE_PGM_RSRC2:TGID_Y_EN: 0
; COMPUTE_PGM_RSRC2:TGID_Z_EN: 0
; COMPUTE_PGM_RSRC2:TIDIG_COMP_CNT: 0
; COMPUTE_PGM_RSRC3_GFX90A:ACCUM_OFFSET: 2
; COMPUTE_PGM_RSRC3_GFX90A:TG_SPLIT: 0
	.section	.text._Z16warp_load_kernelILj1024ELj4ELj32ELN7rocprim17ROCPRIM_304000_NS16warp_load_methodE2EiEvPT3_S4_,"axG",@progbits,_Z16warp_load_kernelILj1024ELj4ELj32ELN7rocprim17ROCPRIM_304000_NS16warp_load_methodE2EiEvPT3_S4_,comdat
	.protected	_Z16warp_load_kernelILj1024ELj4ELj32ELN7rocprim17ROCPRIM_304000_NS16warp_load_methodE2EiEvPT3_S4_ ; -- Begin function _Z16warp_load_kernelILj1024ELj4ELj32ELN7rocprim17ROCPRIM_304000_NS16warp_load_methodE2EiEvPT3_S4_
	.globl	_Z16warp_load_kernelILj1024ELj4ELj32ELN7rocprim17ROCPRIM_304000_NS16warp_load_methodE2EiEvPT3_S4_
	.p2align	8
	.type	_Z16warp_load_kernelILj1024ELj4ELj32ELN7rocprim17ROCPRIM_304000_NS16warp_load_methodE2EiEvPT3_S4_,@function
_Z16warp_load_kernelILj1024ELj4ELj32ELN7rocprim17ROCPRIM_304000_NS16warp_load_methodE2EiEvPT3_S4_: ; @_Z16warp_load_kernelILj1024ELj4ELj32ELN7rocprim17ROCPRIM_304000_NS16warp_load_methodE2EiEvPT3_S4_
; %bb.0:
	s_load_dwordx4 s[0:3], s[4:5], 0x0
	v_lshlrev_b32_e32 v4, 4, v0
	v_mbcnt_lo_u32_b32 v2, -1, 0
	v_and_b32_e32 v0, 0x3e00, v4
	v_mbcnt_hi_u32_b32 v2, -1, v2
	s_waitcnt lgkmcnt(0)
	v_mov_b32_e32 v1, s1
	v_add_co_u32_e32 v0, vcc, s0, v0
	v_and_b32_e32 v2, 31, v2
	v_addc_co_u32_e32 v1, vcc, 0, v1, vcc
	v_lshlrev_b32_e32 v2, 4, v2
	v_add_co_u32_e32 v0, vcc, v0, v2
	v_addc_co_u32_e32 v1, vcc, 0, v1, vcc
	global_load_dwordx4 v[0:3], v[0:1], off
	s_waitcnt vmcnt(0)
	global_store_dwordx4 v4, v[0:3], s[2:3]
	s_endpgm
	.section	.rodata,"a",@progbits
	.p2align	6, 0x0
	.amdhsa_kernel _Z16warp_load_kernelILj1024ELj4ELj32ELN7rocprim17ROCPRIM_304000_NS16warp_load_methodE2EiEvPT3_S4_
		.amdhsa_group_segment_fixed_size 0
		.amdhsa_private_segment_fixed_size 0
		.amdhsa_kernarg_size 16
		.amdhsa_user_sgpr_count 6
		.amdhsa_user_sgpr_private_segment_buffer 1
		.amdhsa_user_sgpr_dispatch_ptr 0
		.amdhsa_user_sgpr_queue_ptr 0
		.amdhsa_user_sgpr_kernarg_segment_ptr 1
		.amdhsa_user_sgpr_dispatch_id 0
		.amdhsa_user_sgpr_flat_scratch_init 0
		.amdhsa_user_sgpr_kernarg_preload_length 0
		.amdhsa_user_sgpr_kernarg_preload_offset 0
		.amdhsa_user_sgpr_private_segment_size 0
		.amdhsa_uses_dynamic_stack 0
		.amdhsa_system_sgpr_private_segment_wavefront_offset 0
		.amdhsa_system_sgpr_workgroup_id_x 1
		.amdhsa_system_sgpr_workgroup_id_y 0
		.amdhsa_system_sgpr_workgroup_id_z 0
		.amdhsa_system_sgpr_workgroup_info 0
		.amdhsa_system_vgpr_workitem_id 0
		.amdhsa_next_free_vgpr 5
		.amdhsa_next_free_sgpr 6
		.amdhsa_accum_offset 8
		.amdhsa_reserve_vcc 1
		.amdhsa_reserve_flat_scratch 0
		.amdhsa_float_round_mode_32 0
		.amdhsa_float_round_mode_16_64 0
		.amdhsa_float_denorm_mode_32 3
		.amdhsa_float_denorm_mode_16_64 3
		.amdhsa_dx10_clamp 1
		.amdhsa_ieee_mode 1
		.amdhsa_fp16_overflow 0
		.amdhsa_tg_split 0
		.amdhsa_exception_fp_ieee_invalid_op 0
		.amdhsa_exception_fp_denorm_src 0
		.amdhsa_exception_fp_ieee_div_zero 0
		.amdhsa_exception_fp_ieee_overflow 0
		.amdhsa_exception_fp_ieee_underflow 0
		.amdhsa_exception_fp_ieee_inexact 0
		.amdhsa_exception_int_div_zero 0
	.end_amdhsa_kernel
	.section	.text._Z16warp_load_kernelILj1024ELj4ELj32ELN7rocprim17ROCPRIM_304000_NS16warp_load_methodE2EiEvPT3_S4_,"axG",@progbits,_Z16warp_load_kernelILj1024ELj4ELj32ELN7rocprim17ROCPRIM_304000_NS16warp_load_methodE2EiEvPT3_S4_,comdat
.Lfunc_end29:
	.size	_Z16warp_load_kernelILj1024ELj4ELj32ELN7rocprim17ROCPRIM_304000_NS16warp_load_methodE2EiEvPT3_S4_, .Lfunc_end29-_Z16warp_load_kernelILj1024ELj4ELj32ELN7rocprim17ROCPRIM_304000_NS16warp_load_methodE2EiEvPT3_S4_
                                        ; -- End function
	.section	.AMDGPU.csdata,"",@progbits
; Kernel info:
; codeLenInByte = 92
; NumSgprs: 10
; NumVgprs: 5
; NumAgprs: 0
; TotalNumVgprs: 5
; ScratchSize: 0
; MemoryBound: 0
; FloatMode: 240
; IeeeMode: 1
; LDSByteSize: 0 bytes/workgroup (compile time only)
; SGPRBlocks: 1
; VGPRBlocks: 0
; NumSGPRsForWavesPerEU: 10
; NumVGPRsForWavesPerEU: 5
; AccumOffset: 8
; Occupancy: 8
; WaveLimiterHint : 0
; COMPUTE_PGM_RSRC2:SCRATCH_EN: 0
; COMPUTE_PGM_RSRC2:USER_SGPR: 6
; COMPUTE_PGM_RSRC2:TRAP_HANDLER: 0
; COMPUTE_PGM_RSRC2:TGID_X_EN: 1
; COMPUTE_PGM_RSRC2:TGID_Y_EN: 0
; COMPUTE_PGM_RSRC2:TGID_Z_EN: 0
; COMPUTE_PGM_RSRC2:TIDIG_COMP_CNT: 0
; COMPUTE_PGM_RSRC3_GFX90A:ACCUM_OFFSET: 1
; COMPUTE_PGM_RSRC3_GFX90A:TG_SPLIT: 0
	.section	.text._Z16warp_load_kernelILj1024ELj4ELj32ELN7rocprim17ROCPRIM_304000_NS16warp_load_methodE1EiEvPT3_S4_,"axG",@progbits,_Z16warp_load_kernelILj1024ELj4ELj32ELN7rocprim17ROCPRIM_304000_NS16warp_load_methodE1EiEvPT3_S4_,comdat
	.protected	_Z16warp_load_kernelILj1024ELj4ELj32ELN7rocprim17ROCPRIM_304000_NS16warp_load_methodE1EiEvPT3_S4_ ; -- Begin function _Z16warp_load_kernelILj1024ELj4ELj32ELN7rocprim17ROCPRIM_304000_NS16warp_load_methodE1EiEvPT3_S4_
	.globl	_Z16warp_load_kernelILj1024ELj4ELj32ELN7rocprim17ROCPRIM_304000_NS16warp_load_methodE1EiEvPT3_S4_
	.p2align	8
	.type	_Z16warp_load_kernelILj1024ELj4ELj32ELN7rocprim17ROCPRIM_304000_NS16warp_load_methodE1EiEvPT3_S4_,@function
_Z16warp_load_kernelILj1024ELj4ELj32ELN7rocprim17ROCPRIM_304000_NS16warp_load_methodE1EiEvPT3_S4_: ; @_Z16warp_load_kernelILj1024ELj4ELj32ELN7rocprim17ROCPRIM_304000_NS16warp_load_methodE1EiEvPT3_S4_
; %bb.0:
	s_load_dwordx4 s[0:3], s[4:5], 0x0
	v_lshlrev_b32_e32 v6, 4, v0
	v_mbcnt_lo_u32_b32 v2, -1, 0
	v_and_b32_e32 v0, 0x3e00, v6
	v_mbcnt_hi_u32_b32 v2, -1, v2
	s_waitcnt lgkmcnt(0)
	v_mov_b32_e32 v1, s1
	v_add_co_u32_e32 v0, vcc, s0, v0
	v_and_b32_e32 v2, 31, v2
	v_addc_co_u32_e32 v1, vcc, 0, v1, vcc
	v_lshlrev_b32_e32 v2, 2, v2
	v_add_co_u32_e32 v4, vcc, v0, v2
	v_addc_co_u32_e32 v5, vcc, 0, v1, vcc
	global_load_dword v0, v[4:5], off
	global_load_dword v1, v[4:5], off offset:128
	global_load_dword v2, v[4:5], off offset:256
	;; [unrolled: 1-line block ×3, first 2 shown]
	s_waitcnt vmcnt(0)
	global_store_dwordx4 v6, v[0:3], s[2:3]
	s_endpgm
	.section	.rodata,"a",@progbits
	.p2align	6, 0x0
	.amdhsa_kernel _Z16warp_load_kernelILj1024ELj4ELj32ELN7rocprim17ROCPRIM_304000_NS16warp_load_methodE1EiEvPT3_S4_
		.amdhsa_group_segment_fixed_size 0
		.amdhsa_private_segment_fixed_size 0
		.amdhsa_kernarg_size 16
		.amdhsa_user_sgpr_count 6
		.amdhsa_user_sgpr_private_segment_buffer 1
		.amdhsa_user_sgpr_dispatch_ptr 0
		.amdhsa_user_sgpr_queue_ptr 0
		.amdhsa_user_sgpr_kernarg_segment_ptr 1
		.amdhsa_user_sgpr_dispatch_id 0
		.amdhsa_user_sgpr_flat_scratch_init 0
		.amdhsa_user_sgpr_kernarg_preload_length 0
		.amdhsa_user_sgpr_kernarg_preload_offset 0
		.amdhsa_user_sgpr_private_segment_size 0
		.amdhsa_uses_dynamic_stack 0
		.amdhsa_system_sgpr_private_segment_wavefront_offset 0
		.amdhsa_system_sgpr_workgroup_id_x 1
		.amdhsa_system_sgpr_workgroup_id_y 0
		.amdhsa_system_sgpr_workgroup_id_z 0
		.amdhsa_system_sgpr_workgroup_info 0
		.amdhsa_system_vgpr_workitem_id 0
		.amdhsa_next_free_vgpr 7
		.amdhsa_next_free_sgpr 6
		.amdhsa_accum_offset 8
		.amdhsa_reserve_vcc 1
		.amdhsa_reserve_flat_scratch 0
		.amdhsa_float_round_mode_32 0
		.amdhsa_float_round_mode_16_64 0
		.amdhsa_float_denorm_mode_32 3
		.amdhsa_float_denorm_mode_16_64 3
		.amdhsa_dx10_clamp 1
		.amdhsa_ieee_mode 1
		.amdhsa_fp16_overflow 0
		.amdhsa_tg_split 0
		.amdhsa_exception_fp_ieee_invalid_op 0
		.amdhsa_exception_fp_denorm_src 0
		.amdhsa_exception_fp_ieee_div_zero 0
		.amdhsa_exception_fp_ieee_overflow 0
		.amdhsa_exception_fp_ieee_underflow 0
		.amdhsa_exception_fp_ieee_inexact 0
		.amdhsa_exception_int_div_zero 0
	.end_amdhsa_kernel
	.section	.text._Z16warp_load_kernelILj1024ELj4ELj32ELN7rocprim17ROCPRIM_304000_NS16warp_load_methodE1EiEvPT3_S4_,"axG",@progbits,_Z16warp_load_kernelILj1024ELj4ELj32ELN7rocprim17ROCPRIM_304000_NS16warp_load_methodE1EiEvPT3_S4_,comdat
.Lfunc_end30:
	.size	_Z16warp_load_kernelILj1024ELj4ELj32ELN7rocprim17ROCPRIM_304000_NS16warp_load_methodE1EiEvPT3_S4_, .Lfunc_end30-_Z16warp_load_kernelILj1024ELj4ELj32ELN7rocprim17ROCPRIM_304000_NS16warp_load_methodE1EiEvPT3_S4_
                                        ; -- End function
	.section	.AMDGPU.csdata,"",@progbits
; Kernel info:
; codeLenInByte = 116
; NumSgprs: 10
; NumVgprs: 7
; NumAgprs: 0
; TotalNumVgprs: 7
; ScratchSize: 0
; MemoryBound: 0
; FloatMode: 240
; IeeeMode: 1
; LDSByteSize: 0 bytes/workgroup (compile time only)
; SGPRBlocks: 1
; VGPRBlocks: 0
; NumSGPRsForWavesPerEU: 10
; NumVGPRsForWavesPerEU: 7
; AccumOffset: 8
; Occupancy: 8
; WaveLimiterHint : 1
; COMPUTE_PGM_RSRC2:SCRATCH_EN: 0
; COMPUTE_PGM_RSRC2:USER_SGPR: 6
; COMPUTE_PGM_RSRC2:TRAP_HANDLER: 0
; COMPUTE_PGM_RSRC2:TGID_X_EN: 1
; COMPUTE_PGM_RSRC2:TGID_Y_EN: 0
; COMPUTE_PGM_RSRC2:TGID_Z_EN: 0
; COMPUTE_PGM_RSRC2:TIDIG_COMP_CNT: 0
; COMPUTE_PGM_RSRC3_GFX90A:ACCUM_OFFSET: 1
; COMPUTE_PGM_RSRC3_GFX90A:TG_SPLIT: 0
	.section	.text._Z16warp_load_kernelILj1024ELj4ELj32ELN7rocprim17ROCPRIM_304000_NS16warp_load_methodE0EiEvPT3_S4_,"axG",@progbits,_Z16warp_load_kernelILj1024ELj4ELj32ELN7rocprim17ROCPRIM_304000_NS16warp_load_methodE0EiEvPT3_S4_,comdat
	.protected	_Z16warp_load_kernelILj1024ELj4ELj32ELN7rocprim17ROCPRIM_304000_NS16warp_load_methodE0EiEvPT3_S4_ ; -- Begin function _Z16warp_load_kernelILj1024ELj4ELj32ELN7rocprim17ROCPRIM_304000_NS16warp_load_methodE0EiEvPT3_S4_
	.globl	_Z16warp_load_kernelILj1024ELj4ELj32ELN7rocprim17ROCPRIM_304000_NS16warp_load_methodE0EiEvPT3_S4_
	.p2align	8
	.type	_Z16warp_load_kernelILj1024ELj4ELj32ELN7rocprim17ROCPRIM_304000_NS16warp_load_methodE0EiEvPT3_S4_,@function
_Z16warp_load_kernelILj1024ELj4ELj32ELN7rocprim17ROCPRIM_304000_NS16warp_load_methodE0EiEvPT3_S4_: ; @_Z16warp_load_kernelILj1024ELj4ELj32ELN7rocprim17ROCPRIM_304000_NS16warp_load_methodE0EiEvPT3_S4_
; %bb.0:
	s_load_dwordx4 s[0:3], s[4:5], 0x0
	v_lshlrev_b32_e32 v4, 4, v0
	v_mbcnt_lo_u32_b32 v2, -1, 0
	v_and_b32_e32 v0, 0x3e00, v4
	v_mbcnt_hi_u32_b32 v2, -1, v2
	s_waitcnt lgkmcnt(0)
	v_mov_b32_e32 v1, s1
	v_add_co_u32_e32 v0, vcc, s0, v0
	v_lshlrev_b32_e32 v2, 4, v2
	v_addc_co_u32_e32 v1, vcc, 0, v1, vcc
	v_and_b32_e32 v2, 0x1f0, v2
	v_add_co_u32_e32 v0, vcc, v0, v2
	v_addc_co_u32_e32 v1, vcc, 0, v1, vcc
	global_load_dwordx4 v[0:3], v[0:1], off
	s_waitcnt vmcnt(0)
	global_store_dwordx4 v4, v[0:3], s[2:3]
	s_endpgm
	.section	.rodata,"a",@progbits
	.p2align	6, 0x0
	.amdhsa_kernel _Z16warp_load_kernelILj1024ELj4ELj32ELN7rocprim17ROCPRIM_304000_NS16warp_load_methodE0EiEvPT3_S4_
		.amdhsa_group_segment_fixed_size 0
		.amdhsa_private_segment_fixed_size 0
		.amdhsa_kernarg_size 16
		.amdhsa_user_sgpr_count 6
		.amdhsa_user_sgpr_private_segment_buffer 1
		.amdhsa_user_sgpr_dispatch_ptr 0
		.amdhsa_user_sgpr_queue_ptr 0
		.amdhsa_user_sgpr_kernarg_segment_ptr 1
		.amdhsa_user_sgpr_dispatch_id 0
		.amdhsa_user_sgpr_flat_scratch_init 0
		.amdhsa_user_sgpr_kernarg_preload_length 0
		.amdhsa_user_sgpr_kernarg_preload_offset 0
		.amdhsa_user_sgpr_private_segment_size 0
		.amdhsa_uses_dynamic_stack 0
		.amdhsa_system_sgpr_private_segment_wavefront_offset 0
		.amdhsa_system_sgpr_workgroup_id_x 1
		.amdhsa_system_sgpr_workgroup_id_y 0
		.amdhsa_system_sgpr_workgroup_id_z 0
		.amdhsa_system_sgpr_workgroup_info 0
		.amdhsa_system_vgpr_workitem_id 0
		.amdhsa_next_free_vgpr 5
		.amdhsa_next_free_sgpr 6
		.amdhsa_accum_offset 8
		.amdhsa_reserve_vcc 1
		.amdhsa_reserve_flat_scratch 0
		.amdhsa_float_round_mode_32 0
		.amdhsa_float_round_mode_16_64 0
		.amdhsa_float_denorm_mode_32 3
		.amdhsa_float_denorm_mode_16_64 3
		.amdhsa_dx10_clamp 1
		.amdhsa_ieee_mode 1
		.amdhsa_fp16_overflow 0
		.amdhsa_tg_split 0
		.amdhsa_exception_fp_ieee_invalid_op 0
		.amdhsa_exception_fp_denorm_src 0
		.amdhsa_exception_fp_ieee_div_zero 0
		.amdhsa_exception_fp_ieee_overflow 0
		.amdhsa_exception_fp_ieee_underflow 0
		.amdhsa_exception_fp_ieee_inexact 0
		.amdhsa_exception_int_div_zero 0
	.end_amdhsa_kernel
	.section	.text._Z16warp_load_kernelILj1024ELj4ELj32ELN7rocprim17ROCPRIM_304000_NS16warp_load_methodE0EiEvPT3_S4_,"axG",@progbits,_Z16warp_load_kernelILj1024ELj4ELj32ELN7rocprim17ROCPRIM_304000_NS16warp_load_methodE0EiEvPT3_S4_,comdat
.Lfunc_end31:
	.size	_Z16warp_load_kernelILj1024ELj4ELj32ELN7rocprim17ROCPRIM_304000_NS16warp_load_methodE0EiEvPT3_S4_, .Lfunc_end31-_Z16warp_load_kernelILj1024ELj4ELj32ELN7rocprim17ROCPRIM_304000_NS16warp_load_methodE0EiEvPT3_S4_
                                        ; -- End function
	.section	.AMDGPU.csdata,"",@progbits
; Kernel info:
; codeLenInByte = 96
; NumSgprs: 10
; NumVgprs: 5
; NumAgprs: 0
; TotalNumVgprs: 5
; ScratchSize: 0
; MemoryBound: 0
; FloatMode: 240
; IeeeMode: 1
; LDSByteSize: 0 bytes/workgroup (compile time only)
; SGPRBlocks: 1
; VGPRBlocks: 0
; NumSGPRsForWavesPerEU: 10
; NumVGPRsForWavesPerEU: 5
; AccumOffset: 8
; Occupancy: 8
; WaveLimiterHint : 0
; COMPUTE_PGM_RSRC2:SCRATCH_EN: 0
; COMPUTE_PGM_RSRC2:USER_SGPR: 6
; COMPUTE_PGM_RSRC2:TRAP_HANDLER: 0
; COMPUTE_PGM_RSRC2:TGID_X_EN: 1
; COMPUTE_PGM_RSRC2:TGID_Y_EN: 0
; COMPUTE_PGM_RSRC2:TGID_Z_EN: 0
; COMPUTE_PGM_RSRC2:TIDIG_COMP_CNT: 0
; COMPUTE_PGM_RSRC3_GFX90A:ACCUM_OFFSET: 1
; COMPUTE_PGM_RSRC3_GFX90A:TG_SPLIT: 0
	.section	.text._Z16warp_load_kernelILj1024ELj4ELj8ELN7rocprim17ROCPRIM_304000_NS16warp_load_methodE3EiEvPT3_S4_,"axG",@progbits,_Z16warp_load_kernelILj1024ELj4ELj8ELN7rocprim17ROCPRIM_304000_NS16warp_load_methodE3EiEvPT3_S4_,comdat
	.protected	_Z16warp_load_kernelILj1024ELj4ELj8ELN7rocprim17ROCPRIM_304000_NS16warp_load_methodE3EiEvPT3_S4_ ; -- Begin function _Z16warp_load_kernelILj1024ELj4ELj8ELN7rocprim17ROCPRIM_304000_NS16warp_load_methodE3EiEvPT3_S4_
	.globl	_Z16warp_load_kernelILj1024ELj4ELj8ELN7rocprim17ROCPRIM_304000_NS16warp_load_methodE3EiEvPT3_S4_
	.p2align	8
	.type	_Z16warp_load_kernelILj1024ELj4ELj8ELN7rocprim17ROCPRIM_304000_NS16warp_load_methodE3EiEvPT3_S4_,@function
_Z16warp_load_kernelILj1024ELj4ELj8ELN7rocprim17ROCPRIM_304000_NS16warp_load_methodE3EiEvPT3_S4_: ; @_Z16warp_load_kernelILj1024ELj4ELj8ELN7rocprim17ROCPRIM_304000_NS16warp_load_methodE3EiEvPT3_S4_
; %bb.0:
	s_load_dwordx4 s[0:3], s[4:5], 0x0
	v_lshlrev_b32_e32 v4, 4, v0
	v_and_b32_e32 v2, 0x3f80, v4
	s_waitcnt lgkmcnt(0)
	v_mov_b32_e32 v0, s1
	v_add_co_u32_e32 v1, vcc, s0, v2
	v_addc_co_u32_e32 v3, vcc, 0, v0, vcc
	v_mbcnt_lo_u32_b32 v0, -1, 0
	v_mbcnt_hi_u32_b32 v0, -1, v0
	v_and_b32_e32 v5, 7, v0
	v_lshlrev_b32_e32 v6, 2, v5
	v_add_co_u32_e32 v0, vcc, v1, v6
	v_addc_co_u32_e32 v1, vcc, 0, v3, vcc
	global_load_dword v3, v[0:1], off
	global_load_dword v7, v[0:1], off offset:32
	global_load_dword v8, v[0:1], off offset:64
	;; [unrolled: 1-line block ×3, first 2 shown]
	v_or_b32_e32 v0, v2, v6
	v_mad_u32_u24 v1, v5, 12, v0
	s_waitcnt vmcnt(2)
	ds_write2_b32 v0, v3, v7 offset1:8
	s_waitcnt vmcnt(0)
	ds_write2_b32 v0, v8, v9 offset0:16 offset1:24
	; wave barrier
	ds_read_b128 v[0:3], v1
	s_waitcnt lgkmcnt(0)
	global_store_dwordx4 v4, v[0:3], s[2:3]
	s_endpgm
	.section	.rodata,"a",@progbits
	.p2align	6, 0x0
	.amdhsa_kernel _Z16warp_load_kernelILj1024ELj4ELj8ELN7rocprim17ROCPRIM_304000_NS16warp_load_methodE3EiEvPT3_S4_
		.amdhsa_group_segment_fixed_size 16384
		.amdhsa_private_segment_fixed_size 0
		.amdhsa_kernarg_size 16
		.amdhsa_user_sgpr_count 6
		.amdhsa_user_sgpr_private_segment_buffer 1
		.amdhsa_user_sgpr_dispatch_ptr 0
		.amdhsa_user_sgpr_queue_ptr 0
		.amdhsa_user_sgpr_kernarg_segment_ptr 1
		.amdhsa_user_sgpr_dispatch_id 0
		.amdhsa_user_sgpr_flat_scratch_init 0
		.amdhsa_user_sgpr_kernarg_preload_length 0
		.amdhsa_user_sgpr_kernarg_preload_offset 0
		.amdhsa_user_sgpr_private_segment_size 0
		.amdhsa_uses_dynamic_stack 0
		.amdhsa_system_sgpr_private_segment_wavefront_offset 0
		.amdhsa_system_sgpr_workgroup_id_x 1
		.amdhsa_system_sgpr_workgroup_id_y 0
		.amdhsa_system_sgpr_workgroup_id_z 0
		.amdhsa_system_sgpr_workgroup_info 0
		.amdhsa_system_vgpr_workitem_id 0
		.amdhsa_next_free_vgpr 10
		.amdhsa_next_free_sgpr 6
		.amdhsa_accum_offset 12
		.amdhsa_reserve_vcc 1
		.amdhsa_reserve_flat_scratch 0
		.amdhsa_float_round_mode_32 0
		.amdhsa_float_round_mode_16_64 0
		.amdhsa_float_denorm_mode_32 3
		.amdhsa_float_denorm_mode_16_64 3
		.amdhsa_dx10_clamp 1
		.amdhsa_ieee_mode 1
		.amdhsa_fp16_overflow 0
		.amdhsa_tg_split 0
		.amdhsa_exception_fp_ieee_invalid_op 0
		.amdhsa_exception_fp_denorm_src 0
		.amdhsa_exception_fp_ieee_div_zero 0
		.amdhsa_exception_fp_ieee_overflow 0
		.amdhsa_exception_fp_ieee_underflow 0
		.amdhsa_exception_fp_ieee_inexact 0
		.amdhsa_exception_int_div_zero 0
	.end_amdhsa_kernel
	.section	.text._Z16warp_load_kernelILj1024ELj4ELj8ELN7rocprim17ROCPRIM_304000_NS16warp_load_methodE3EiEvPT3_S4_,"axG",@progbits,_Z16warp_load_kernelILj1024ELj4ELj8ELN7rocprim17ROCPRIM_304000_NS16warp_load_methodE3EiEvPT3_S4_,comdat
.Lfunc_end32:
	.size	_Z16warp_load_kernelILj1024ELj4ELj8ELN7rocprim17ROCPRIM_304000_NS16warp_load_methodE3EiEvPT3_S4_, .Lfunc_end32-_Z16warp_load_kernelILj1024ELj4ELj8ELN7rocprim17ROCPRIM_304000_NS16warp_load_methodE3EiEvPT3_S4_
                                        ; -- End function
	.section	.AMDGPU.csdata,"",@progbits
; Kernel info:
; codeLenInByte = 160
; NumSgprs: 10
; NumVgprs: 10
; NumAgprs: 0
; TotalNumVgprs: 10
; ScratchSize: 0
; MemoryBound: 0
; FloatMode: 240
; IeeeMode: 1
; LDSByteSize: 16384 bytes/workgroup (compile time only)
; SGPRBlocks: 1
; VGPRBlocks: 1
; NumSGPRsForWavesPerEU: 10
; NumVGPRsForWavesPerEU: 10
; AccumOffset: 12
; Occupancy: 8
; WaveLimiterHint : 0
; COMPUTE_PGM_RSRC2:SCRATCH_EN: 0
; COMPUTE_PGM_RSRC2:USER_SGPR: 6
; COMPUTE_PGM_RSRC2:TRAP_HANDLER: 0
; COMPUTE_PGM_RSRC2:TGID_X_EN: 1
; COMPUTE_PGM_RSRC2:TGID_Y_EN: 0
; COMPUTE_PGM_RSRC2:TGID_Z_EN: 0
; COMPUTE_PGM_RSRC2:TIDIG_COMP_CNT: 0
; COMPUTE_PGM_RSRC3_GFX90A:ACCUM_OFFSET: 2
; COMPUTE_PGM_RSRC3_GFX90A:TG_SPLIT: 0
	.section	.text._Z16warp_load_kernelILj1024ELj4ELj8ELN7rocprim17ROCPRIM_304000_NS16warp_load_methodE2EiEvPT3_S4_,"axG",@progbits,_Z16warp_load_kernelILj1024ELj4ELj8ELN7rocprim17ROCPRIM_304000_NS16warp_load_methodE2EiEvPT3_S4_,comdat
	.protected	_Z16warp_load_kernelILj1024ELj4ELj8ELN7rocprim17ROCPRIM_304000_NS16warp_load_methodE2EiEvPT3_S4_ ; -- Begin function _Z16warp_load_kernelILj1024ELj4ELj8ELN7rocprim17ROCPRIM_304000_NS16warp_load_methodE2EiEvPT3_S4_
	.globl	_Z16warp_load_kernelILj1024ELj4ELj8ELN7rocprim17ROCPRIM_304000_NS16warp_load_methodE2EiEvPT3_S4_
	.p2align	8
	.type	_Z16warp_load_kernelILj1024ELj4ELj8ELN7rocprim17ROCPRIM_304000_NS16warp_load_methodE2EiEvPT3_S4_,@function
_Z16warp_load_kernelILj1024ELj4ELj8ELN7rocprim17ROCPRIM_304000_NS16warp_load_methodE2EiEvPT3_S4_: ; @_Z16warp_load_kernelILj1024ELj4ELj8ELN7rocprim17ROCPRIM_304000_NS16warp_load_methodE2EiEvPT3_S4_
; %bb.0:
	s_load_dwordx4 s[0:3], s[4:5], 0x0
	v_lshlrev_b32_e32 v4, 4, v0
	v_mbcnt_lo_u32_b32 v2, -1, 0
	v_and_b32_e32 v0, 0x3f80, v4
	v_mbcnt_hi_u32_b32 v2, -1, v2
	s_waitcnt lgkmcnt(0)
	v_mov_b32_e32 v1, s1
	v_add_co_u32_e32 v0, vcc, s0, v0
	v_and_b32_e32 v2, 7, v2
	v_addc_co_u32_e32 v1, vcc, 0, v1, vcc
	v_lshlrev_b32_e32 v2, 4, v2
	v_add_co_u32_e32 v0, vcc, v0, v2
	v_addc_co_u32_e32 v1, vcc, 0, v1, vcc
	global_load_dwordx4 v[0:3], v[0:1], off
	s_waitcnt vmcnt(0)
	global_store_dwordx4 v4, v[0:3], s[2:3]
	s_endpgm
	.section	.rodata,"a",@progbits
	.p2align	6, 0x0
	.amdhsa_kernel _Z16warp_load_kernelILj1024ELj4ELj8ELN7rocprim17ROCPRIM_304000_NS16warp_load_methodE2EiEvPT3_S4_
		.amdhsa_group_segment_fixed_size 0
		.amdhsa_private_segment_fixed_size 0
		.amdhsa_kernarg_size 16
		.amdhsa_user_sgpr_count 6
		.amdhsa_user_sgpr_private_segment_buffer 1
		.amdhsa_user_sgpr_dispatch_ptr 0
		.amdhsa_user_sgpr_queue_ptr 0
		.amdhsa_user_sgpr_kernarg_segment_ptr 1
		.amdhsa_user_sgpr_dispatch_id 0
		.amdhsa_user_sgpr_flat_scratch_init 0
		.amdhsa_user_sgpr_kernarg_preload_length 0
		.amdhsa_user_sgpr_kernarg_preload_offset 0
		.amdhsa_user_sgpr_private_segment_size 0
		.amdhsa_uses_dynamic_stack 0
		.amdhsa_system_sgpr_private_segment_wavefront_offset 0
		.amdhsa_system_sgpr_workgroup_id_x 1
		.amdhsa_system_sgpr_workgroup_id_y 0
		.amdhsa_system_sgpr_workgroup_id_z 0
		.amdhsa_system_sgpr_workgroup_info 0
		.amdhsa_system_vgpr_workitem_id 0
		.amdhsa_next_free_vgpr 5
		.amdhsa_next_free_sgpr 6
		.amdhsa_accum_offset 8
		.amdhsa_reserve_vcc 1
		.amdhsa_reserve_flat_scratch 0
		.amdhsa_float_round_mode_32 0
		.amdhsa_float_round_mode_16_64 0
		.amdhsa_float_denorm_mode_32 3
		.amdhsa_float_denorm_mode_16_64 3
		.amdhsa_dx10_clamp 1
		.amdhsa_ieee_mode 1
		.amdhsa_fp16_overflow 0
		.amdhsa_tg_split 0
		.amdhsa_exception_fp_ieee_invalid_op 0
		.amdhsa_exception_fp_denorm_src 0
		.amdhsa_exception_fp_ieee_div_zero 0
		.amdhsa_exception_fp_ieee_overflow 0
		.amdhsa_exception_fp_ieee_underflow 0
		.amdhsa_exception_fp_ieee_inexact 0
		.amdhsa_exception_int_div_zero 0
	.end_amdhsa_kernel
	.section	.text._Z16warp_load_kernelILj1024ELj4ELj8ELN7rocprim17ROCPRIM_304000_NS16warp_load_methodE2EiEvPT3_S4_,"axG",@progbits,_Z16warp_load_kernelILj1024ELj4ELj8ELN7rocprim17ROCPRIM_304000_NS16warp_load_methodE2EiEvPT3_S4_,comdat
.Lfunc_end33:
	.size	_Z16warp_load_kernelILj1024ELj4ELj8ELN7rocprim17ROCPRIM_304000_NS16warp_load_methodE2EiEvPT3_S4_, .Lfunc_end33-_Z16warp_load_kernelILj1024ELj4ELj8ELN7rocprim17ROCPRIM_304000_NS16warp_load_methodE2EiEvPT3_S4_
                                        ; -- End function
	.section	.AMDGPU.csdata,"",@progbits
; Kernel info:
; codeLenInByte = 92
; NumSgprs: 10
; NumVgprs: 5
; NumAgprs: 0
; TotalNumVgprs: 5
; ScratchSize: 0
; MemoryBound: 0
; FloatMode: 240
; IeeeMode: 1
; LDSByteSize: 0 bytes/workgroup (compile time only)
; SGPRBlocks: 1
; VGPRBlocks: 0
; NumSGPRsForWavesPerEU: 10
; NumVGPRsForWavesPerEU: 5
; AccumOffset: 8
; Occupancy: 8
; WaveLimiterHint : 0
; COMPUTE_PGM_RSRC2:SCRATCH_EN: 0
; COMPUTE_PGM_RSRC2:USER_SGPR: 6
; COMPUTE_PGM_RSRC2:TRAP_HANDLER: 0
; COMPUTE_PGM_RSRC2:TGID_X_EN: 1
; COMPUTE_PGM_RSRC2:TGID_Y_EN: 0
; COMPUTE_PGM_RSRC2:TGID_Z_EN: 0
; COMPUTE_PGM_RSRC2:TIDIG_COMP_CNT: 0
; COMPUTE_PGM_RSRC3_GFX90A:ACCUM_OFFSET: 1
; COMPUTE_PGM_RSRC3_GFX90A:TG_SPLIT: 0
	.section	.text._Z16warp_load_kernelILj1024ELj4ELj8ELN7rocprim17ROCPRIM_304000_NS16warp_load_methodE1EiEvPT3_S4_,"axG",@progbits,_Z16warp_load_kernelILj1024ELj4ELj8ELN7rocprim17ROCPRIM_304000_NS16warp_load_methodE1EiEvPT3_S4_,comdat
	.protected	_Z16warp_load_kernelILj1024ELj4ELj8ELN7rocprim17ROCPRIM_304000_NS16warp_load_methodE1EiEvPT3_S4_ ; -- Begin function _Z16warp_load_kernelILj1024ELj4ELj8ELN7rocprim17ROCPRIM_304000_NS16warp_load_methodE1EiEvPT3_S4_
	.globl	_Z16warp_load_kernelILj1024ELj4ELj8ELN7rocprim17ROCPRIM_304000_NS16warp_load_methodE1EiEvPT3_S4_
	.p2align	8
	.type	_Z16warp_load_kernelILj1024ELj4ELj8ELN7rocprim17ROCPRIM_304000_NS16warp_load_methodE1EiEvPT3_S4_,@function
_Z16warp_load_kernelILj1024ELj4ELj8ELN7rocprim17ROCPRIM_304000_NS16warp_load_methodE1EiEvPT3_S4_: ; @_Z16warp_load_kernelILj1024ELj4ELj8ELN7rocprim17ROCPRIM_304000_NS16warp_load_methodE1EiEvPT3_S4_
; %bb.0:
	s_load_dwordx4 s[0:3], s[4:5], 0x0
	v_lshlrev_b32_e32 v6, 4, v0
	v_mbcnt_lo_u32_b32 v2, -1, 0
	v_and_b32_e32 v0, 0x3f80, v6
	v_mbcnt_hi_u32_b32 v2, -1, v2
	s_waitcnt lgkmcnt(0)
	v_mov_b32_e32 v1, s1
	v_add_co_u32_e32 v0, vcc, s0, v0
	v_and_b32_e32 v2, 7, v2
	v_addc_co_u32_e32 v1, vcc, 0, v1, vcc
	v_lshlrev_b32_e32 v2, 2, v2
	v_add_co_u32_e32 v4, vcc, v0, v2
	v_addc_co_u32_e32 v5, vcc, 0, v1, vcc
	global_load_dword v0, v[4:5], off
	global_load_dword v1, v[4:5], off offset:32
	global_load_dword v2, v[4:5], off offset:64
	;; [unrolled: 1-line block ×3, first 2 shown]
	s_waitcnt vmcnt(0)
	global_store_dwordx4 v6, v[0:3], s[2:3]
	s_endpgm
	.section	.rodata,"a",@progbits
	.p2align	6, 0x0
	.amdhsa_kernel _Z16warp_load_kernelILj1024ELj4ELj8ELN7rocprim17ROCPRIM_304000_NS16warp_load_methodE1EiEvPT3_S4_
		.amdhsa_group_segment_fixed_size 0
		.amdhsa_private_segment_fixed_size 0
		.amdhsa_kernarg_size 16
		.amdhsa_user_sgpr_count 6
		.amdhsa_user_sgpr_private_segment_buffer 1
		.amdhsa_user_sgpr_dispatch_ptr 0
		.amdhsa_user_sgpr_queue_ptr 0
		.amdhsa_user_sgpr_kernarg_segment_ptr 1
		.amdhsa_user_sgpr_dispatch_id 0
		.amdhsa_user_sgpr_flat_scratch_init 0
		.amdhsa_user_sgpr_kernarg_preload_length 0
		.amdhsa_user_sgpr_kernarg_preload_offset 0
		.amdhsa_user_sgpr_private_segment_size 0
		.amdhsa_uses_dynamic_stack 0
		.amdhsa_system_sgpr_private_segment_wavefront_offset 0
		.amdhsa_system_sgpr_workgroup_id_x 1
		.amdhsa_system_sgpr_workgroup_id_y 0
		.amdhsa_system_sgpr_workgroup_id_z 0
		.amdhsa_system_sgpr_workgroup_info 0
		.amdhsa_system_vgpr_workitem_id 0
		.amdhsa_next_free_vgpr 7
		.amdhsa_next_free_sgpr 6
		.amdhsa_accum_offset 8
		.amdhsa_reserve_vcc 1
		.amdhsa_reserve_flat_scratch 0
		.amdhsa_float_round_mode_32 0
		.amdhsa_float_round_mode_16_64 0
		.amdhsa_float_denorm_mode_32 3
		.amdhsa_float_denorm_mode_16_64 3
		.amdhsa_dx10_clamp 1
		.amdhsa_ieee_mode 1
		.amdhsa_fp16_overflow 0
		.amdhsa_tg_split 0
		.amdhsa_exception_fp_ieee_invalid_op 0
		.amdhsa_exception_fp_denorm_src 0
		.amdhsa_exception_fp_ieee_div_zero 0
		.amdhsa_exception_fp_ieee_overflow 0
		.amdhsa_exception_fp_ieee_underflow 0
		.amdhsa_exception_fp_ieee_inexact 0
		.amdhsa_exception_int_div_zero 0
	.end_amdhsa_kernel
	.section	.text._Z16warp_load_kernelILj1024ELj4ELj8ELN7rocprim17ROCPRIM_304000_NS16warp_load_methodE1EiEvPT3_S4_,"axG",@progbits,_Z16warp_load_kernelILj1024ELj4ELj8ELN7rocprim17ROCPRIM_304000_NS16warp_load_methodE1EiEvPT3_S4_,comdat
.Lfunc_end34:
	.size	_Z16warp_load_kernelILj1024ELj4ELj8ELN7rocprim17ROCPRIM_304000_NS16warp_load_methodE1EiEvPT3_S4_, .Lfunc_end34-_Z16warp_load_kernelILj1024ELj4ELj8ELN7rocprim17ROCPRIM_304000_NS16warp_load_methodE1EiEvPT3_S4_
                                        ; -- End function
	.section	.AMDGPU.csdata,"",@progbits
; Kernel info:
; codeLenInByte = 116
; NumSgprs: 10
; NumVgprs: 7
; NumAgprs: 0
; TotalNumVgprs: 7
; ScratchSize: 0
; MemoryBound: 0
; FloatMode: 240
; IeeeMode: 1
; LDSByteSize: 0 bytes/workgroup (compile time only)
; SGPRBlocks: 1
; VGPRBlocks: 0
; NumSGPRsForWavesPerEU: 10
; NumVGPRsForWavesPerEU: 7
; AccumOffset: 8
; Occupancy: 8
; WaveLimiterHint : 0
; COMPUTE_PGM_RSRC2:SCRATCH_EN: 0
; COMPUTE_PGM_RSRC2:USER_SGPR: 6
; COMPUTE_PGM_RSRC2:TRAP_HANDLER: 0
; COMPUTE_PGM_RSRC2:TGID_X_EN: 1
; COMPUTE_PGM_RSRC2:TGID_Y_EN: 0
; COMPUTE_PGM_RSRC2:TGID_Z_EN: 0
; COMPUTE_PGM_RSRC2:TIDIG_COMP_CNT: 0
; COMPUTE_PGM_RSRC3_GFX90A:ACCUM_OFFSET: 1
; COMPUTE_PGM_RSRC3_GFX90A:TG_SPLIT: 0
	.section	.text._Z16warp_load_kernelILj1024ELj4ELj8ELN7rocprim17ROCPRIM_304000_NS16warp_load_methodE0EiEvPT3_S4_,"axG",@progbits,_Z16warp_load_kernelILj1024ELj4ELj8ELN7rocprim17ROCPRIM_304000_NS16warp_load_methodE0EiEvPT3_S4_,comdat
	.protected	_Z16warp_load_kernelILj1024ELj4ELj8ELN7rocprim17ROCPRIM_304000_NS16warp_load_methodE0EiEvPT3_S4_ ; -- Begin function _Z16warp_load_kernelILj1024ELj4ELj8ELN7rocprim17ROCPRIM_304000_NS16warp_load_methodE0EiEvPT3_S4_
	.globl	_Z16warp_load_kernelILj1024ELj4ELj8ELN7rocprim17ROCPRIM_304000_NS16warp_load_methodE0EiEvPT3_S4_
	.p2align	8
	.type	_Z16warp_load_kernelILj1024ELj4ELj8ELN7rocprim17ROCPRIM_304000_NS16warp_load_methodE0EiEvPT3_S4_,@function
_Z16warp_load_kernelILj1024ELj4ELj8ELN7rocprim17ROCPRIM_304000_NS16warp_load_methodE0EiEvPT3_S4_: ; @_Z16warp_load_kernelILj1024ELj4ELj8ELN7rocprim17ROCPRIM_304000_NS16warp_load_methodE0EiEvPT3_S4_
; %bb.0:
	s_load_dwordx4 s[0:3], s[4:5], 0x0
	v_lshlrev_b32_e32 v4, 4, v0
	v_mbcnt_lo_u32_b32 v2, -1, 0
	v_and_b32_e32 v0, 0x3f80, v4
	v_mbcnt_hi_u32_b32 v2, -1, v2
	s_waitcnt lgkmcnt(0)
	v_mov_b32_e32 v1, s1
	v_add_co_u32_e32 v0, vcc, s0, v0
	v_lshlrev_b32_e32 v2, 4, v2
	v_addc_co_u32_e32 v1, vcc, 0, v1, vcc
	v_and_b32_e32 v2, 0x70, v2
	v_add_co_u32_e32 v0, vcc, v0, v2
	v_addc_co_u32_e32 v1, vcc, 0, v1, vcc
	global_load_dwordx4 v[0:3], v[0:1], off
	s_waitcnt vmcnt(0)
	global_store_dwordx4 v4, v[0:3], s[2:3]
	s_endpgm
	.section	.rodata,"a",@progbits
	.p2align	6, 0x0
	.amdhsa_kernel _Z16warp_load_kernelILj1024ELj4ELj8ELN7rocprim17ROCPRIM_304000_NS16warp_load_methodE0EiEvPT3_S4_
		.amdhsa_group_segment_fixed_size 0
		.amdhsa_private_segment_fixed_size 0
		.amdhsa_kernarg_size 16
		.amdhsa_user_sgpr_count 6
		.amdhsa_user_sgpr_private_segment_buffer 1
		.amdhsa_user_sgpr_dispatch_ptr 0
		.amdhsa_user_sgpr_queue_ptr 0
		.amdhsa_user_sgpr_kernarg_segment_ptr 1
		.amdhsa_user_sgpr_dispatch_id 0
		.amdhsa_user_sgpr_flat_scratch_init 0
		.amdhsa_user_sgpr_kernarg_preload_length 0
		.amdhsa_user_sgpr_kernarg_preload_offset 0
		.amdhsa_user_sgpr_private_segment_size 0
		.amdhsa_uses_dynamic_stack 0
		.amdhsa_system_sgpr_private_segment_wavefront_offset 0
		.amdhsa_system_sgpr_workgroup_id_x 1
		.amdhsa_system_sgpr_workgroup_id_y 0
		.amdhsa_system_sgpr_workgroup_id_z 0
		.amdhsa_system_sgpr_workgroup_info 0
		.amdhsa_system_vgpr_workitem_id 0
		.amdhsa_next_free_vgpr 5
		.amdhsa_next_free_sgpr 6
		.amdhsa_accum_offset 8
		.amdhsa_reserve_vcc 1
		.amdhsa_reserve_flat_scratch 0
		.amdhsa_float_round_mode_32 0
		.amdhsa_float_round_mode_16_64 0
		.amdhsa_float_denorm_mode_32 3
		.amdhsa_float_denorm_mode_16_64 3
		.amdhsa_dx10_clamp 1
		.amdhsa_ieee_mode 1
		.amdhsa_fp16_overflow 0
		.amdhsa_tg_split 0
		.amdhsa_exception_fp_ieee_invalid_op 0
		.amdhsa_exception_fp_denorm_src 0
		.amdhsa_exception_fp_ieee_div_zero 0
		.amdhsa_exception_fp_ieee_overflow 0
		.amdhsa_exception_fp_ieee_underflow 0
		.amdhsa_exception_fp_ieee_inexact 0
		.amdhsa_exception_int_div_zero 0
	.end_amdhsa_kernel
	.section	.text._Z16warp_load_kernelILj1024ELj4ELj8ELN7rocprim17ROCPRIM_304000_NS16warp_load_methodE0EiEvPT3_S4_,"axG",@progbits,_Z16warp_load_kernelILj1024ELj4ELj8ELN7rocprim17ROCPRIM_304000_NS16warp_load_methodE0EiEvPT3_S4_,comdat
.Lfunc_end35:
	.size	_Z16warp_load_kernelILj1024ELj4ELj8ELN7rocprim17ROCPRIM_304000_NS16warp_load_methodE0EiEvPT3_S4_, .Lfunc_end35-_Z16warp_load_kernelILj1024ELj4ELj8ELN7rocprim17ROCPRIM_304000_NS16warp_load_methodE0EiEvPT3_S4_
                                        ; -- End function
	.section	.AMDGPU.csdata,"",@progbits
; Kernel info:
; codeLenInByte = 96
; NumSgprs: 10
; NumVgprs: 5
; NumAgprs: 0
; TotalNumVgprs: 5
; ScratchSize: 0
; MemoryBound: 0
; FloatMode: 240
; IeeeMode: 1
; LDSByteSize: 0 bytes/workgroup (compile time only)
; SGPRBlocks: 1
; VGPRBlocks: 0
; NumSGPRsForWavesPerEU: 10
; NumVGPRsForWavesPerEU: 5
; AccumOffset: 8
; Occupancy: 8
; WaveLimiterHint : 0
; COMPUTE_PGM_RSRC2:SCRATCH_EN: 0
; COMPUTE_PGM_RSRC2:USER_SGPR: 6
; COMPUTE_PGM_RSRC2:TRAP_HANDLER: 0
; COMPUTE_PGM_RSRC2:TGID_X_EN: 1
; COMPUTE_PGM_RSRC2:TGID_Y_EN: 0
; COMPUTE_PGM_RSRC2:TGID_Z_EN: 0
; COMPUTE_PGM_RSRC2:TIDIG_COMP_CNT: 0
; COMPUTE_PGM_RSRC3_GFX90A:ACCUM_OFFSET: 1
; COMPUTE_PGM_RSRC3_GFX90A:TG_SPLIT: 0
	.section	.text._Z24warp_load_guarded_kernelILj1024ELj4ELj1ELN7rocprim17ROCPRIM_304000_NS16warp_load_methodE3E12hip_bfloat16EvPT3_S5_iS4_,"axG",@progbits,_Z24warp_load_guarded_kernelILj1024ELj4ELj1ELN7rocprim17ROCPRIM_304000_NS16warp_load_methodE3E12hip_bfloat16EvPT3_S5_iS4_,comdat
	.protected	_Z24warp_load_guarded_kernelILj1024ELj4ELj1ELN7rocprim17ROCPRIM_304000_NS16warp_load_methodE3E12hip_bfloat16EvPT3_S5_iS4_ ; -- Begin function _Z24warp_load_guarded_kernelILj1024ELj4ELj1ELN7rocprim17ROCPRIM_304000_NS16warp_load_methodE3E12hip_bfloat16EvPT3_S5_iS4_
	.globl	_Z24warp_load_guarded_kernelILj1024ELj4ELj1ELN7rocprim17ROCPRIM_304000_NS16warp_load_methodE3E12hip_bfloat16EvPT3_S5_iS4_
	.p2align	8
	.type	_Z24warp_load_guarded_kernelILj1024ELj4ELj1ELN7rocprim17ROCPRIM_304000_NS16warp_load_methodE3E12hip_bfloat16EvPT3_S5_iS4_,@function
_Z24warp_load_guarded_kernelILj1024ELj4ELj1ELN7rocprim17ROCPRIM_304000_NS16warp_load_methodE3E12hip_bfloat16EvPT3_S5_iS4_: ; @_Z24warp_load_guarded_kernelILj1024ELj4ELj1ELN7rocprim17ROCPRIM_304000_NS16warp_load_methodE3E12hip_bfloat16EvPT3_S5_iS4_
; %bb.0:
	s_load_dwordx4 s[0:3], s[4:5], 0x0
	s_load_dwordx2 s[6:7], s[4:5], 0x10
	v_lshlrev_b32_e32 v1, 3, v0
	s_waitcnt lgkmcnt(0)
	v_mov_b32_e32 v3, s1
	v_add_co_u32_e32 v2, vcc, s0, v1
	s_cmp_eq_u32 s6, 0
	v_addc_co_u32_e32 v3, vcc, 0, v3, vcc
	s_cbranch_scc1 .LBB36_8
; %bb.1:
	global_load_ushort v4, v[2:3], off
	s_cmp_lt_u32 s6, 2
	v_mov_b32_e32 v5, s7
	s_cbranch_scc1 .LBB36_3
.LBB36_2:
	global_load_ushort v5, v[2:3], off offset:2
.LBB36_3:
	v_lshlrev_b32_e32 v0, 2, v0
	s_cmp_lt_u32 s6, 3
	v_mov_b32_e32 v6, s7
	s_cbranch_scc0 .LBB36_7
; %bb.4:
	s_cmp_lt_u32 s6, 4
	v_mov_b32_e32 v7, s7
	s_cbranch_scc1 .LBB36_6
.LBB36_5:
	global_load_ushort v7, v[2:3], off offset:6
.LBB36_6:
	s_mov_b32 s0, 0x5040100
	s_waitcnt vmcnt(0)
	v_perm_b32 v3, v7, v6, s0
	v_perm_b32 v2, v5, v4, s0
	ds_write_b64 v1, v[2:3]
	; wave barrier
	ds_read_b64 v[2:3], v1
	v_lshlrev_b32_e32 v0, 1, v0
	s_waitcnt lgkmcnt(0)
	global_store_dwordx2 v0, v[2:3], s[2:3]
	s_endpgm
.LBB36_7:
	global_load_ushort v6, v[2:3], off offset:4
	s_cmp_lt_u32 s6, 4
	v_mov_b32_e32 v7, s7
	s_cbranch_scc0 .LBB36_5
	s_branch .LBB36_6
.LBB36_8:
	v_mov_b32_e32 v4, s7
	s_cmp_lt_u32 s6, 2
	v_mov_b32_e32 v5, s7
	s_cbranch_scc0 .LBB36_2
	s_branch .LBB36_3
	.section	.rodata,"a",@progbits
	.p2align	6, 0x0
	.amdhsa_kernel _Z24warp_load_guarded_kernelILj1024ELj4ELj1ELN7rocprim17ROCPRIM_304000_NS16warp_load_methodE3E12hip_bfloat16EvPT3_S5_iS4_
		.amdhsa_group_segment_fixed_size 8192
		.amdhsa_private_segment_fixed_size 0
		.amdhsa_kernarg_size 24
		.amdhsa_user_sgpr_count 6
		.amdhsa_user_sgpr_private_segment_buffer 1
		.amdhsa_user_sgpr_dispatch_ptr 0
		.amdhsa_user_sgpr_queue_ptr 0
		.amdhsa_user_sgpr_kernarg_segment_ptr 1
		.amdhsa_user_sgpr_dispatch_id 0
		.amdhsa_user_sgpr_flat_scratch_init 0
		.amdhsa_user_sgpr_kernarg_preload_length 0
		.amdhsa_user_sgpr_kernarg_preload_offset 0
		.amdhsa_user_sgpr_private_segment_size 0
		.amdhsa_uses_dynamic_stack 0
		.amdhsa_system_sgpr_private_segment_wavefront_offset 0
		.amdhsa_system_sgpr_workgroup_id_x 1
		.amdhsa_system_sgpr_workgroup_id_y 0
		.amdhsa_system_sgpr_workgroup_id_z 0
		.amdhsa_system_sgpr_workgroup_info 0
		.amdhsa_system_vgpr_workitem_id 0
		.amdhsa_next_free_vgpr 8
		.amdhsa_next_free_sgpr 8
		.amdhsa_accum_offset 8
		.amdhsa_reserve_vcc 1
		.amdhsa_reserve_flat_scratch 0
		.amdhsa_float_round_mode_32 0
		.amdhsa_float_round_mode_16_64 0
		.amdhsa_float_denorm_mode_32 3
		.amdhsa_float_denorm_mode_16_64 3
		.amdhsa_dx10_clamp 1
		.amdhsa_ieee_mode 1
		.amdhsa_fp16_overflow 0
		.amdhsa_tg_split 0
		.amdhsa_exception_fp_ieee_invalid_op 0
		.amdhsa_exception_fp_denorm_src 0
		.amdhsa_exception_fp_ieee_div_zero 0
		.amdhsa_exception_fp_ieee_overflow 0
		.amdhsa_exception_fp_ieee_underflow 0
		.amdhsa_exception_fp_ieee_inexact 0
		.amdhsa_exception_int_div_zero 0
	.end_amdhsa_kernel
	.section	.text._Z24warp_load_guarded_kernelILj1024ELj4ELj1ELN7rocprim17ROCPRIM_304000_NS16warp_load_methodE3E12hip_bfloat16EvPT3_S5_iS4_,"axG",@progbits,_Z24warp_load_guarded_kernelILj1024ELj4ELj1ELN7rocprim17ROCPRIM_304000_NS16warp_load_methodE3E12hip_bfloat16EvPT3_S5_iS4_,comdat
.Lfunc_end36:
	.size	_Z24warp_load_guarded_kernelILj1024ELj4ELj1ELN7rocprim17ROCPRIM_304000_NS16warp_load_methodE3E12hip_bfloat16EvPT3_S5_iS4_, .Lfunc_end36-_Z24warp_load_guarded_kernelILj1024ELj4ELj1ELN7rocprim17ROCPRIM_304000_NS16warp_load_methodE3E12hip_bfloat16EvPT3_S5_iS4_
                                        ; -- End function
	.section	.AMDGPU.csdata,"",@progbits
; Kernel info:
; codeLenInByte = 216
; NumSgprs: 12
; NumVgprs: 8
; NumAgprs: 0
; TotalNumVgprs: 8
; ScratchSize: 0
; MemoryBound: 0
; FloatMode: 240
; IeeeMode: 1
; LDSByteSize: 8192 bytes/workgroup (compile time only)
; SGPRBlocks: 1
; VGPRBlocks: 0
; NumSGPRsForWavesPerEU: 12
; NumVGPRsForWavesPerEU: 8
; AccumOffset: 8
; Occupancy: 8
; WaveLimiterHint : 0
; COMPUTE_PGM_RSRC2:SCRATCH_EN: 0
; COMPUTE_PGM_RSRC2:USER_SGPR: 6
; COMPUTE_PGM_RSRC2:TRAP_HANDLER: 0
; COMPUTE_PGM_RSRC2:TGID_X_EN: 1
; COMPUTE_PGM_RSRC2:TGID_Y_EN: 0
; COMPUTE_PGM_RSRC2:TGID_Z_EN: 0
; COMPUTE_PGM_RSRC2:TIDIG_COMP_CNT: 0
; COMPUTE_PGM_RSRC3_GFX90A:ACCUM_OFFSET: 1
; COMPUTE_PGM_RSRC3_GFX90A:TG_SPLIT: 0
	.section	.text._Z24warp_load_guarded_kernelILj1024ELj4ELj1ELN7rocprim17ROCPRIM_304000_NS16warp_load_methodE2E12hip_bfloat16EvPT3_S5_iS4_,"axG",@progbits,_Z24warp_load_guarded_kernelILj1024ELj4ELj1ELN7rocprim17ROCPRIM_304000_NS16warp_load_methodE2E12hip_bfloat16EvPT3_S5_iS4_,comdat
	.protected	_Z24warp_load_guarded_kernelILj1024ELj4ELj1ELN7rocprim17ROCPRIM_304000_NS16warp_load_methodE2E12hip_bfloat16EvPT3_S5_iS4_ ; -- Begin function _Z24warp_load_guarded_kernelILj1024ELj4ELj1ELN7rocprim17ROCPRIM_304000_NS16warp_load_methodE2E12hip_bfloat16EvPT3_S5_iS4_
	.globl	_Z24warp_load_guarded_kernelILj1024ELj4ELj1ELN7rocprim17ROCPRIM_304000_NS16warp_load_methodE2E12hip_bfloat16EvPT3_S5_iS4_
	.p2align	8
	.type	_Z24warp_load_guarded_kernelILj1024ELj4ELj1ELN7rocprim17ROCPRIM_304000_NS16warp_load_methodE2E12hip_bfloat16EvPT3_S5_iS4_,@function
_Z24warp_load_guarded_kernelILj1024ELj4ELj1ELN7rocprim17ROCPRIM_304000_NS16warp_load_methodE2E12hip_bfloat16EvPT3_S5_iS4_: ; @_Z24warp_load_guarded_kernelILj1024ELj4ELj1ELN7rocprim17ROCPRIM_304000_NS16warp_load_methodE2E12hip_bfloat16EvPT3_S5_iS4_
; %bb.0:
	s_load_dwordx4 s[0:3], s[4:5], 0x0
	s_load_dwordx2 s[6:7], s[4:5], 0x10
	v_lshlrev_b32_e32 v1, 3, v0
	s_waitcnt lgkmcnt(0)
	v_mov_b32_e32 v3, s1
	v_add_co_u32_e32 v2, vcc, s0, v1
	s_cmp_eq_u32 s6, 0
	v_addc_co_u32_e32 v3, vcc, 0, v3, vcc
	s_cbranch_scc1 .LBB37_8
; %bb.1:
	global_load_ushort v1, v[2:3], off
	s_cmp_lt_u32 s6, 2
	v_mov_b32_e32 v4, s7
	s_cbranch_scc1 .LBB37_3
.LBB37_2:
	global_load_ushort v4, v[2:3], off offset:2
.LBB37_3:
	v_lshlrev_b32_e32 v0, 2, v0
	s_cmp_lt_u32 s6, 3
	v_mov_b32_e32 v5, s7
	s_cbranch_scc0 .LBB37_7
; %bb.4:
	s_cmp_lt_u32 s6, 4
	v_mov_b32_e32 v6, s7
	s_cbranch_scc1 .LBB37_6
.LBB37_5:
	global_load_ushort v6, v[2:3], off offset:6
.LBB37_6:
	s_mov_b32 s0, 0x5040100
	v_lshlrev_b32_e32 v0, 1, v0
	s_waitcnt vmcnt(0)
	v_perm_b32 v3, v6, v5, s0
	v_perm_b32 v2, v4, v1, s0
	global_store_dwordx2 v0, v[2:3], s[2:3]
	s_endpgm
.LBB37_7:
	global_load_ushort v5, v[2:3], off offset:4
	s_cmp_lt_u32 s6, 4
	v_mov_b32_e32 v6, s7
	s_cbranch_scc0 .LBB37_5
	s_branch .LBB37_6
.LBB37_8:
	v_mov_b32_e32 v1, s7
	s_cmp_lt_u32 s6, 2
	v_mov_b32_e32 v4, s7
	s_cbranch_scc0 .LBB37_2
	s_branch .LBB37_3
	.section	.rodata,"a",@progbits
	.p2align	6, 0x0
	.amdhsa_kernel _Z24warp_load_guarded_kernelILj1024ELj4ELj1ELN7rocprim17ROCPRIM_304000_NS16warp_load_methodE2E12hip_bfloat16EvPT3_S5_iS4_
		.amdhsa_group_segment_fixed_size 0
		.amdhsa_private_segment_fixed_size 0
		.amdhsa_kernarg_size 24
		.amdhsa_user_sgpr_count 6
		.amdhsa_user_sgpr_private_segment_buffer 1
		.amdhsa_user_sgpr_dispatch_ptr 0
		.amdhsa_user_sgpr_queue_ptr 0
		.amdhsa_user_sgpr_kernarg_segment_ptr 1
		.amdhsa_user_sgpr_dispatch_id 0
		.amdhsa_user_sgpr_flat_scratch_init 0
		.amdhsa_user_sgpr_kernarg_preload_length 0
		.amdhsa_user_sgpr_kernarg_preload_offset 0
		.amdhsa_user_sgpr_private_segment_size 0
		.amdhsa_uses_dynamic_stack 0
		.amdhsa_system_sgpr_private_segment_wavefront_offset 0
		.amdhsa_system_sgpr_workgroup_id_x 1
		.amdhsa_system_sgpr_workgroup_id_y 0
		.amdhsa_system_sgpr_workgroup_id_z 0
		.amdhsa_system_sgpr_workgroup_info 0
		.amdhsa_system_vgpr_workitem_id 0
		.amdhsa_next_free_vgpr 7
		.amdhsa_next_free_sgpr 8
		.amdhsa_accum_offset 8
		.amdhsa_reserve_vcc 1
		.amdhsa_reserve_flat_scratch 0
		.amdhsa_float_round_mode_32 0
		.amdhsa_float_round_mode_16_64 0
		.amdhsa_float_denorm_mode_32 3
		.amdhsa_float_denorm_mode_16_64 3
		.amdhsa_dx10_clamp 1
		.amdhsa_ieee_mode 1
		.amdhsa_fp16_overflow 0
		.amdhsa_tg_split 0
		.amdhsa_exception_fp_ieee_invalid_op 0
		.amdhsa_exception_fp_denorm_src 0
		.amdhsa_exception_fp_ieee_div_zero 0
		.amdhsa_exception_fp_ieee_overflow 0
		.amdhsa_exception_fp_ieee_underflow 0
		.amdhsa_exception_fp_ieee_inexact 0
		.amdhsa_exception_int_div_zero 0
	.end_amdhsa_kernel
	.section	.text._Z24warp_load_guarded_kernelILj1024ELj4ELj1ELN7rocprim17ROCPRIM_304000_NS16warp_load_methodE2E12hip_bfloat16EvPT3_S5_iS4_,"axG",@progbits,_Z24warp_load_guarded_kernelILj1024ELj4ELj1ELN7rocprim17ROCPRIM_304000_NS16warp_load_methodE2E12hip_bfloat16EvPT3_S5_iS4_,comdat
.Lfunc_end37:
	.size	_Z24warp_load_guarded_kernelILj1024ELj4ELj1ELN7rocprim17ROCPRIM_304000_NS16warp_load_methodE2E12hip_bfloat16EvPT3_S5_iS4_, .Lfunc_end37-_Z24warp_load_guarded_kernelILj1024ELj4ELj1ELN7rocprim17ROCPRIM_304000_NS16warp_load_methodE2E12hip_bfloat16EvPT3_S5_iS4_
                                        ; -- End function
	.section	.AMDGPU.csdata,"",@progbits
; Kernel info:
; codeLenInByte = 196
; NumSgprs: 12
; NumVgprs: 7
; NumAgprs: 0
; TotalNumVgprs: 7
; ScratchSize: 0
; MemoryBound: 0
; FloatMode: 240
; IeeeMode: 1
; LDSByteSize: 0 bytes/workgroup (compile time only)
; SGPRBlocks: 1
; VGPRBlocks: 0
; NumSGPRsForWavesPerEU: 12
; NumVGPRsForWavesPerEU: 7
; AccumOffset: 8
; Occupancy: 8
; WaveLimiterHint : 0
; COMPUTE_PGM_RSRC2:SCRATCH_EN: 0
; COMPUTE_PGM_RSRC2:USER_SGPR: 6
; COMPUTE_PGM_RSRC2:TRAP_HANDLER: 0
; COMPUTE_PGM_RSRC2:TGID_X_EN: 1
; COMPUTE_PGM_RSRC2:TGID_Y_EN: 0
; COMPUTE_PGM_RSRC2:TGID_Z_EN: 0
; COMPUTE_PGM_RSRC2:TIDIG_COMP_CNT: 0
; COMPUTE_PGM_RSRC3_GFX90A:ACCUM_OFFSET: 1
; COMPUTE_PGM_RSRC3_GFX90A:TG_SPLIT: 0
	.section	.text._Z24warp_load_guarded_kernelILj1024ELj4ELj1ELN7rocprim17ROCPRIM_304000_NS16warp_load_methodE1E12hip_bfloat16EvPT3_S5_iS4_,"axG",@progbits,_Z24warp_load_guarded_kernelILj1024ELj4ELj1ELN7rocprim17ROCPRIM_304000_NS16warp_load_methodE1E12hip_bfloat16EvPT3_S5_iS4_,comdat
	.protected	_Z24warp_load_guarded_kernelILj1024ELj4ELj1ELN7rocprim17ROCPRIM_304000_NS16warp_load_methodE1E12hip_bfloat16EvPT3_S5_iS4_ ; -- Begin function _Z24warp_load_guarded_kernelILj1024ELj4ELj1ELN7rocprim17ROCPRIM_304000_NS16warp_load_methodE1E12hip_bfloat16EvPT3_S5_iS4_
	.globl	_Z24warp_load_guarded_kernelILj1024ELj4ELj1ELN7rocprim17ROCPRIM_304000_NS16warp_load_methodE1E12hip_bfloat16EvPT3_S5_iS4_
	.p2align	8
	.type	_Z24warp_load_guarded_kernelILj1024ELj4ELj1ELN7rocprim17ROCPRIM_304000_NS16warp_load_methodE1E12hip_bfloat16EvPT3_S5_iS4_,@function
_Z24warp_load_guarded_kernelILj1024ELj4ELj1ELN7rocprim17ROCPRIM_304000_NS16warp_load_methodE1E12hip_bfloat16EvPT3_S5_iS4_: ; @_Z24warp_load_guarded_kernelILj1024ELj4ELj1ELN7rocprim17ROCPRIM_304000_NS16warp_load_methodE1E12hip_bfloat16EvPT3_S5_iS4_
; %bb.0:
	s_load_dwordx4 s[0:3], s[4:5], 0x0
	s_load_dwordx2 s[6:7], s[4:5], 0x10
	v_lshlrev_b32_e32 v1, 3, v0
	s_waitcnt lgkmcnt(0)
	v_mov_b32_e32 v3, s1
	v_add_co_u32_e32 v2, vcc, s0, v1
	s_cmp_eq_u32 s6, 0
	v_addc_co_u32_e32 v3, vcc, 0, v3, vcc
	s_cbranch_scc1 .LBB38_8
; %bb.1:
	global_load_ushort v1, v[2:3], off
	s_cmp_lt_u32 s6, 2
	v_mov_b32_e32 v4, s7
	s_cbranch_scc1 .LBB38_3
.LBB38_2:
	global_load_ushort v4, v[2:3], off offset:2
.LBB38_3:
	v_lshlrev_b32_e32 v0, 2, v0
	s_cmp_lt_u32 s6, 3
	v_mov_b32_e32 v5, s7
	s_cbranch_scc0 .LBB38_7
; %bb.4:
	s_cmp_lt_u32 s6, 4
	v_mov_b32_e32 v6, s7
	s_cbranch_scc1 .LBB38_6
.LBB38_5:
	global_load_ushort v6, v[2:3], off offset:6
.LBB38_6:
	s_mov_b32 s0, 0x5040100
	v_lshlrev_b32_e32 v0, 1, v0
	s_waitcnt vmcnt(0)
	v_perm_b32 v3, v6, v5, s0
	v_perm_b32 v2, v4, v1, s0
	global_store_dwordx2 v0, v[2:3], s[2:3]
	s_endpgm
.LBB38_7:
	global_load_ushort v5, v[2:3], off offset:4
	s_cmp_lt_u32 s6, 4
	v_mov_b32_e32 v6, s7
	s_cbranch_scc0 .LBB38_5
	s_branch .LBB38_6
.LBB38_8:
	v_mov_b32_e32 v1, s7
	s_cmp_lt_u32 s6, 2
	v_mov_b32_e32 v4, s7
	s_cbranch_scc0 .LBB38_2
	s_branch .LBB38_3
	.section	.rodata,"a",@progbits
	.p2align	6, 0x0
	.amdhsa_kernel _Z24warp_load_guarded_kernelILj1024ELj4ELj1ELN7rocprim17ROCPRIM_304000_NS16warp_load_methodE1E12hip_bfloat16EvPT3_S5_iS4_
		.amdhsa_group_segment_fixed_size 0
		.amdhsa_private_segment_fixed_size 0
		.amdhsa_kernarg_size 24
		.amdhsa_user_sgpr_count 6
		.amdhsa_user_sgpr_private_segment_buffer 1
		.amdhsa_user_sgpr_dispatch_ptr 0
		.amdhsa_user_sgpr_queue_ptr 0
		.amdhsa_user_sgpr_kernarg_segment_ptr 1
		.amdhsa_user_sgpr_dispatch_id 0
		.amdhsa_user_sgpr_flat_scratch_init 0
		.amdhsa_user_sgpr_kernarg_preload_length 0
		.amdhsa_user_sgpr_kernarg_preload_offset 0
		.amdhsa_user_sgpr_private_segment_size 0
		.amdhsa_uses_dynamic_stack 0
		.amdhsa_system_sgpr_private_segment_wavefront_offset 0
		.amdhsa_system_sgpr_workgroup_id_x 1
		.amdhsa_system_sgpr_workgroup_id_y 0
		.amdhsa_system_sgpr_workgroup_id_z 0
		.amdhsa_system_sgpr_workgroup_info 0
		.amdhsa_system_vgpr_workitem_id 0
		.amdhsa_next_free_vgpr 7
		.amdhsa_next_free_sgpr 8
		.amdhsa_accum_offset 8
		.amdhsa_reserve_vcc 1
		.amdhsa_reserve_flat_scratch 0
		.amdhsa_float_round_mode_32 0
		.amdhsa_float_round_mode_16_64 0
		.amdhsa_float_denorm_mode_32 3
		.amdhsa_float_denorm_mode_16_64 3
		.amdhsa_dx10_clamp 1
		.amdhsa_ieee_mode 1
		.amdhsa_fp16_overflow 0
		.amdhsa_tg_split 0
		.amdhsa_exception_fp_ieee_invalid_op 0
		.amdhsa_exception_fp_denorm_src 0
		.amdhsa_exception_fp_ieee_div_zero 0
		.amdhsa_exception_fp_ieee_overflow 0
		.amdhsa_exception_fp_ieee_underflow 0
		.amdhsa_exception_fp_ieee_inexact 0
		.amdhsa_exception_int_div_zero 0
	.end_amdhsa_kernel
	.section	.text._Z24warp_load_guarded_kernelILj1024ELj4ELj1ELN7rocprim17ROCPRIM_304000_NS16warp_load_methodE1E12hip_bfloat16EvPT3_S5_iS4_,"axG",@progbits,_Z24warp_load_guarded_kernelILj1024ELj4ELj1ELN7rocprim17ROCPRIM_304000_NS16warp_load_methodE1E12hip_bfloat16EvPT3_S5_iS4_,comdat
.Lfunc_end38:
	.size	_Z24warp_load_guarded_kernelILj1024ELj4ELj1ELN7rocprim17ROCPRIM_304000_NS16warp_load_methodE1E12hip_bfloat16EvPT3_S5_iS4_, .Lfunc_end38-_Z24warp_load_guarded_kernelILj1024ELj4ELj1ELN7rocprim17ROCPRIM_304000_NS16warp_load_methodE1E12hip_bfloat16EvPT3_S5_iS4_
                                        ; -- End function
	.section	.AMDGPU.csdata,"",@progbits
; Kernel info:
; codeLenInByte = 196
; NumSgprs: 12
; NumVgprs: 7
; NumAgprs: 0
; TotalNumVgprs: 7
; ScratchSize: 0
; MemoryBound: 0
; FloatMode: 240
; IeeeMode: 1
; LDSByteSize: 0 bytes/workgroup (compile time only)
; SGPRBlocks: 1
; VGPRBlocks: 0
; NumSGPRsForWavesPerEU: 12
; NumVGPRsForWavesPerEU: 7
; AccumOffset: 8
; Occupancy: 8
; WaveLimiterHint : 0
; COMPUTE_PGM_RSRC2:SCRATCH_EN: 0
; COMPUTE_PGM_RSRC2:USER_SGPR: 6
; COMPUTE_PGM_RSRC2:TRAP_HANDLER: 0
; COMPUTE_PGM_RSRC2:TGID_X_EN: 1
; COMPUTE_PGM_RSRC2:TGID_Y_EN: 0
; COMPUTE_PGM_RSRC2:TGID_Z_EN: 0
; COMPUTE_PGM_RSRC2:TIDIG_COMP_CNT: 0
; COMPUTE_PGM_RSRC3_GFX90A:ACCUM_OFFSET: 1
; COMPUTE_PGM_RSRC3_GFX90A:TG_SPLIT: 0
	.section	.text._Z24warp_load_guarded_kernelILj1024ELj4ELj1ELN7rocprim17ROCPRIM_304000_NS16warp_load_methodE0E12hip_bfloat16EvPT3_S5_iS4_,"axG",@progbits,_Z24warp_load_guarded_kernelILj1024ELj4ELj1ELN7rocprim17ROCPRIM_304000_NS16warp_load_methodE0E12hip_bfloat16EvPT3_S5_iS4_,comdat
	.protected	_Z24warp_load_guarded_kernelILj1024ELj4ELj1ELN7rocprim17ROCPRIM_304000_NS16warp_load_methodE0E12hip_bfloat16EvPT3_S5_iS4_ ; -- Begin function _Z24warp_load_guarded_kernelILj1024ELj4ELj1ELN7rocprim17ROCPRIM_304000_NS16warp_load_methodE0E12hip_bfloat16EvPT3_S5_iS4_
	.globl	_Z24warp_load_guarded_kernelILj1024ELj4ELj1ELN7rocprim17ROCPRIM_304000_NS16warp_load_methodE0E12hip_bfloat16EvPT3_S5_iS4_
	.p2align	8
	.type	_Z24warp_load_guarded_kernelILj1024ELj4ELj1ELN7rocprim17ROCPRIM_304000_NS16warp_load_methodE0E12hip_bfloat16EvPT3_S5_iS4_,@function
_Z24warp_load_guarded_kernelILj1024ELj4ELj1ELN7rocprim17ROCPRIM_304000_NS16warp_load_methodE0E12hip_bfloat16EvPT3_S5_iS4_: ; @_Z24warp_load_guarded_kernelILj1024ELj4ELj1ELN7rocprim17ROCPRIM_304000_NS16warp_load_methodE0E12hip_bfloat16EvPT3_S5_iS4_
; %bb.0:
	s_load_dwordx4 s[0:3], s[4:5], 0x0
	s_load_dwordx2 s[6:7], s[4:5], 0x10
	v_lshlrev_b32_e32 v1, 3, v0
	s_waitcnt lgkmcnt(0)
	v_mov_b32_e32 v3, s1
	v_add_co_u32_e32 v2, vcc, s0, v1
	s_cmp_eq_u32 s6, 0
	v_addc_co_u32_e32 v3, vcc, 0, v3, vcc
	s_cbranch_scc1 .LBB39_8
; %bb.1:
	global_load_ushort v1, v[2:3], off
	s_cmp_lt_u32 s6, 2
	v_mov_b32_e32 v4, s7
	s_cbranch_scc1 .LBB39_3
.LBB39_2:
	global_load_ushort v4, v[2:3], off offset:2
.LBB39_3:
	v_lshlrev_b32_e32 v0, 2, v0
	s_cmp_lt_u32 s6, 3
	v_mov_b32_e32 v5, s7
	s_cbranch_scc0 .LBB39_7
; %bb.4:
	s_cmp_lt_u32 s6, 4
	v_mov_b32_e32 v6, s7
	s_cbranch_scc1 .LBB39_6
.LBB39_5:
	global_load_ushort v6, v[2:3], off offset:6
.LBB39_6:
	s_mov_b32 s0, 0x5040100
	v_lshlrev_b32_e32 v0, 1, v0
	s_waitcnt vmcnt(0)
	v_perm_b32 v3, v6, v5, s0
	v_perm_b32 v2, v4, v1, s0
	global_store_dwordx2 v0, v[2:3], s[2:3]
	s_endpgm
.LBB39_7:
	global_load_ushort v5, v[2:3], off offset:4
	s_cmp_lt_u32 s6, 4
	v_mov_b32_e32 v6, s7
	s_cbranch_scc0 .LBB39_5
	s_branch .LBB39_6
.LBB39_8:
	v_mov_b32_e32 v1, s7
	s_cmp_lt_u32 s6, 2
	v_mov_b32_e32 v4, s7
	s_cbranch_scc0 .LBB39_2
	s_branch .LBB39_3
	.section	.rodata,"a",@progbits
	.p2align	6, 0x0
	.amdhsa_kernel _Z24warp_load_guarded_kernelILj1024ELj4ELj1ELN7rocprim17ROCPRIM_304000_NS16warp_load_methodE0E12hip_bfloat16EvPT3_S5_iS4_
		.amdhsa_group_segment_fixed_size 0
		.amdhsa_private_segment_fixed_size 0
		.amdhsa_kernarg_size 24
		.amdhsa_user_sgpr_count 6
		.amdhsa_user_sgpr_private_segment_buffer 1
		.amdhsa_user_sgpr_dispatch_ptr 0
		.amdhsa_user_sgpr_queue_ptr 0
		.amdhsa_user_sgpr_kernarg_segment_ptr 1
		.amdhsa_user_sgpr_dispatch_id 0
		.amdhsa_user_sgpr_flat_scratch_init 0
		.amdhsa_user_sgpr_kernarg_preload_length 0
		.amdhsa_user_sgpr_kernarg_preload_offset 0
		.amdhsa_user_sgpr_private_segment_size 0
		.amdhsa_uses_dynamic_stack 0
		.amdhsa_system_sgpr_private_segment_wavefront_offset 0
		.amdhsa_system_sgpr_workgroup_id_x 1
		.amdhsa_system_sgpr_workgroup_id_y 0
		.amdhsa_system_sgpr_workgroup_id_z 0
		.amdhsa_system_sgpr_workgroup_info 0
		.amdhsa_system_vgpr_workitem_id 0
		.amdhsa_next_free_vgpr 7
		.amdhsa_next_free_sgpr 8
		.amdhsa_accum_offset 8
		.amdhsa_reserve_vcc 1
		.amdhsa_reserve_flat_scratch 0
		.amdhsa_float_round_mode_32 0
		.amdhsa_float_round_mode_16_64 0
		.amdhsa_float_denorm_mode_32 3
		.amdhsa_float_denorm_mode_16_64 3
		.amdhsa_dx10_clamp 1
		.amdhsa_ieee_mode 1
		.amdhsa_fp16_overflow 0
		.amdhsa_tg_split 0
		.amdhsa_exception_fp_ieee_invalid_op 0
		.amdhsa_exception_fp_denorm_src 0
		.amdhsa_exception_fp_ieee_div_zero 0
		.amdhsa_exception_fp_ieee_overflow 0
		.amdhsa_exception_fp_ieee_underflow 0
		.amdhsa_exception_fp_ieee_inexact 0
		.amdhsa_exception_int_div_zero 0
	.end_amdhsa_kernel
	.section	.text._Z24warp_load_guarded_kernelILj1024ELj4ELj1ELN7rocprim17ROCPRIM_304000_NS16warp_load_methodE0E12hip_bfloat16EvPT3_S5_iS4_,"axG",@progbits,_Z24warp_load_guarded_kernelILj1024ELj4ELj1ELN7rocprim17ROCPRIM_304000_NS16warp_load_methodE0E12hip_bfloat16EvPT3_S5_iS4_,comdat
.Lfunc_end39:
	.size	_Z24warp_load_guarded_kernelILj1024ELj4ELj1ELN7rocprim17ROCPRIM_304000_NS16warp_load_methodE0E12hip_bfloat16EvPT3_S5_iS4_, .Lfunc_end39-_Z24warp_load_guarded_kernelILj1024ELj4ELj1ELN7rocprim17ROCPRIM_304000_NS16warp_load_methodE0E12hip_bfloat16EvPT3_S5_iS4_
                                        ; -- End function
	.section	.AMDGPU.csdata,"",@progbits
; Kernel info:
; codeLenInByte = 196
; NumSgprs: 12
; NumVgprs: 7
; NumAgprs: 0
; TotalNumVgprs: 7
; ScratchSize: 0
; MemoryBound: 0
; FloatMode: 240
; IeeeMode: 1
; LDSByteSize: 0 bytes/workgroup (compile time only)
; SGPRBlocks: 1
; VGPRBlocks: 0
; NumSGPRsForWavesPerEU: 12
; NumVGPRsForWavesPerEU: 7
; AccumOffset: 8
; Occupancy: 8
; WaveLimiterHint : 0
; COMPUTE_PGM_RSRC2:SCRATCH_EN: 0
; COMPUTE_PGM_RSRC2:USER_SGPR: 6
; COMPUTE_PGM_RSRC2:TRAP_HANDLER: 0
; COMPUTE_PGM_RSRC2:TGID_X_EN: 1
; COMPUTE_PGM_RSRC2:TGID_Y_EN: 0
; COMPUTE_PGM_RSRC2:TGID_Z_EN: 0
; COMPUTE_PGM_RSRC2:TIDIG_COMP_CNT: 0
; COMPUTE_PGM_RSRC3_GFX90A:ACCUM_OFFSET: 1
; COMPUTE_PGM_RSRC3_GFX90A:TG_SPLIT: 0
	.section	.text._Z24warp_load_guarded_kernelILj1024ELj4ELj1ELN7rocprim17ROCPRIM_304000_NS16warp_load_methodE3EdEvPT3_S4_iS3_,"axG",@progbits,_Z24warp_load_guarded_kernelILj1024ELj4ELj1ELN7rocprim17ROCPRIM_304000_NS16warp_load_methodE3EdEvPT3_S4_iS3_,comdat
	.protected	_Z24warp_load_guarded_kernelILj1024ELj4ELj1ELN7rocprim17ROCPRIM_304000_NS16warp_load_methodE3EdEvPT3_S4_iS3_ ; -- Begin function _Z24warp_load_guarded_kernelILj1024ELj4ELj1ELN7rocprim17ROCPRIM_304000_NS16warp_load_methodE3EdEvPT3_S4_iS3_
	.globl	_Z24warp_load_guarded_kernelILj1024ELj4ELj1ELN7rocprim17ROCPRIM_304000_NS16warp_load_methodE3EdEvPT3_S4_iS3_
	.p2align	8
	.type	_Z24warp_load_guarded_kernelILj1024ELj4ELj1ELN7rocprim17ROCPRIM_304000_NS16warp_load_methodE3EdEvPT3_S4_iS3_,@function
_Z24warp_load_guarded_kernelILj1024ELj4ELj1ELN7rocprim17ROCPRIM_304000_NS16warp_load_methodE3EdEvPT3_S4_iS3_: ; @_Z24warp_load_guarded_kernelILj1024ELj4ELj1ELN7rocprim17ROCPRIM_304000_NS16warp_load_methodE3EdEvPT3_S4_iS3_
; %bb.0:
	s_load_dwordx4 s[8:11], s[4:5], 0x0
	s_load_dword s12, s[4:5], 0x10
	s_load_dwordx2 s[0:1], s[4:5], 0x18
	v_lshlrev_b32_e32 v1, 5, v0
	s_waitcnt lgkmcnt(0)
	v_mov_b32_e32 v2, s9
	v_add_co_u32_e32 v12, vcc, s8, v1
	v_addc_co_u32_e32 v13, vcc, 0, v2, vcc
	s_mov_b32 s2, s0
	s_mov_b32 s3, s1
	;; [unrolled: 1-line block ×5, first 2 shown]
	s_cmp_eq_u32 s12, 0
	s_mov_b32 s7, s1
	s_cbranch_scc1 .LBB40_8
; %bb.1:
	global_load_dwordx2 v[10:11], v[12:13], off
	v_pk_mov_b32 v[8:9], s[6:7], s[6:7] op_sel:[0,1]
	v_pk_mov_b32 v[6:7], s[4:5], s[4:5] op_sel:[0,1]
	;; [unrolled: 1-line block ×4, first 2 shown]
	s_cmp_lt_u32 s12, 2
	s_cbranch_scc1 .LBB40_3
.LBB40_2:
	global_load_dwordx2 v[4:5], v[12:13], off offset:8
.LBB40_3:
	s_cmp_lt_u32 s12, 3
	v_lshlrev_b32_e32 v0, 2, v0
	s_cbranch_scc0 .LBB40_7
; %bb.4:
	s_cmp_lt_u32 s12, 4
	s_cbranch_scc1 .LBB40_6
.LBB40_5:
	global_load_dwordx2 v[8:9], v[12:13], off offset:24
.LBB40_6:
	s_waitcnt vmcnt(0)
	v_mov_b32_e32 v12, v4
	v_mov_b32_e32 v13, v5
	ds_write_b128 v1, v[10:13]
	ds_write_b128 v1, v[6:9] offset:16
	; wave barrier
	ds_read_b128 v[2:5], v1
	ds_read_b128 v[6:9], v1 offset:16
	v_lshlrev_b32_e32 v0, 3, v0
	s_waitcnt lgkmcnt(1)
	global_store_dwordx4 v0, v[2:5], s[10:11]
	s_waitcnt lgkmcnt(0)
	global_store_dwordx4 v0, v[6:9], s[10:11] offset:16
	s_endpgm
.LBB40_7:
	global_load_dwordx2 v[6:7], v[12:13], off offset:16
	s_cmp_lt_u32 s12, 4
	s_cbranch_scc0 .LBB40_5
	s_branch .LBB40_6
.LBB40_8:
	v_pk_mov_b32 v[8:9], s[6:7], s[6:7] op_sel:[0,1]
	v_pk_mov_b32 v[6:7], s[4:5], s[4:5] op_sel:[0,1]
	;; [unrolled: 1-line block ×5, first 2 shown]
	s_cmp_lt_u32 s12, 2
	s_cbranch_scc0 .LBB40_2
	s_branch .LBB40_3
	.section	.rodata,"a",@progbits
	.p2align	6, 0x0
	.amdhsa_kernel _Z24warp_load_guarded_kernelILj1024ELj4ELj1ELN7rocprim17ROCPRIM_304000_NS16warp_load_methodE3EdEvPT3_S4_iS3_
		.amdhsa_group_segment_fixed_size 32768
		.amdhsa_private_segment_fixed_size 0
		.amdhsa_kernarg_size 32
		.amdhsa_user_sgpr_count 6
		.amdhsa_user_sgpr_private_segment_buffer 1
		.amdhsa_user_sgpr_dispatch_ptr 0
		.amdhsa_user_sgpr_queue_ptr 0
		.amdhsa_user_sgpr_kernarg_segment_ptr 1
		.amdhsa_user_sgpr_dispatch_id 0
		.amdhsa_user_sgpr_flat_scratch_init 0
		.amdhsa_user_sgpr_kernarg_preload_length 0
		.amdhsa_user_sgpr_kernarg_preload_offset 0
		.amdhsa_user_sgpr_private_segment_size 0
		.amdhsa_uses_dynamic_stack 0
		.amdhsa_system_sgpr_private_segment_wavefront_offset 0
		.amdhsa_system_sgpr_workgroup_id_x 1
		.amdhsa_system_sgpr_workgroup_id_y 0
		.amdhsa_system_sgpr_workgroup_id_z 0
		.amdhsa_system_sgpr_workgroup_info 0
		.amdhsa_system_vgpr_workitem_id 0
		.amdhsa_next_free_vgpr 14
		.amdhsa_next_free_sgpr 13
		.amdhsa_accum_offset 16
		.amdhsa_reserve_vcc 1
		.amdhsa_reserve_flat_scratch 0
		.amdhsa_float_round_mode_32 0
		.amdhsa_float_round_mode_16_64 0
		.amdhsa_float_denorm_mode_32 3
		.amdhsa_float_denorm_mode_16_64 3
		.amdhsa_dx10_clamp 1
		.amdhsa_ieee_mode 1
		.amdhsa_fp16_overflow 0
		.amdhsa_tg_split 0
		.amdhsa_exception_fp_ieee_invalid_op 0
		.amdhsa_exception_fp_denorm_src 0
		.amdhsa_exception_fp_ieee_div_zero 0
		.amdhsa_exception_fp_ieee_overflow 0
		.amdhsa_exception_fp_ieee_underflow 0
		.amdhsa_exception_fp_ieee_inexact 0
		.amdhsa_exception_int_div_zero 0
	.end_amdhsa_kernel
	.section	.text._Z24warp_load_guarded_kernelILj1024ELj4ELj1ELN7rocprim17ROCPRIM_304000_NS16warp_load_methodE3EdEvPT3_S4_iS3_,"axG",@progbits,_Z24warp_load_guarded_kernelILj1024ELj4ELj1ELN7rocprim17ROCPRIM_304000_NS16warp_load_methodE3EdEvPT3_S4_iS3_,comdat
.Lfunc_end40:
	.size	_Z24warp_load_guarded_kernelILj1024ELj4ELj1ELN7rocprim17ROCPRIM_304000_NS16warp_load_methodE3EdEvPT3_S4_iS3_, .Lfunc_end40-_Z24warp_load_guarded_kernelILj1024ELj4ELj1ELN7rocprim17ROCPRIM_304000_NS16warp_load_methodE3EdEvPT3_S4_iS3_
                                        ; -- End function
	.section	.AMDGPU.csdata,"",@progbits
; Kernel info:
; codeLenInByte = 308
; NumSgprs: 17
; NumVgprs: 14
; NumAgprs: 0
; TotalNumVgprs: 14
; ScratchSize: 0
; MemoryBound: 1
; FloatMode: 240
; IeeeMode: 1
; LDSByteSize: 32768 bytes/workgroup (compile time only)
; SGPRBlocks: 2
; VGPRBlocks: 1
; NumSGPRsForWavesPerEU: 17
; NumVGPRsForWavesPerEU: 14
; AccumOffset: 16
; Occupancy: 8
; WaveLimiterHint : 0
; COMPUTE_PGM_RSRC2:SCRATCH_EN: 0
; COMPUTE_PGM_RSRC2:USER_SGPR: 6
; COMPUTE_PGM_RSRC2:TRAP_HANDLER: 0
; COMPUTE_PGM_RSRC2:TGID_X_EN: 1
; COMPUTE_PGM_RSRC2:TGID_Y_EN: 0
; COMPUTE_PGM_RSRC2:TGID_Z_EN: 0
; COMPUTE_PGM_RSRC2:TIDIG_COMP_CNT: 0
; COMPUTE_PGM_RSRC3_GFX90A:ACCUM_OFFSET: 3
; COMPUTE_PGM_RSRC3_GFX90A:TG_SPLIT: 0
	.section	.text._Z24warp_load_guarded_kernelILj1024ELj4ELj1ELN7rocprim17ROCPRIM_304000_NS16warp_load_methodE2EdEvPT3_S4_iS3_,"axG",@progbits,_Z24warp_load_guarded_kernelILj1024ELj4ELj1ELN7rocprim17ROCPRIM_304000_NS16warp_load_methodE2EdEvPT3_S4_iS3_,comdat
	.protected	_Z24warp_load_guarded_kernelILj1024ELj4ELj1ELN7rocprim17ROCPRIM_304000_NS16warp_load_methodE2EdEvPT3_S4_iS3_ ; -- Begin function _Z24warp_load_guarded_kernelILj1024ELj4ELj1ELN7rocprim17ROCPRIM_304000_NS16warp_load_methodE2EdEvPT3_S4_iS3_
	.globl	_Z24warp_load_guarded_kernelILj1024ELj4ELj1ELN7rocprim17ROCPRIM_304000_NS16warp_load_methodE2EdEvPT3_S4_iS3_
	.p2align	8
	.type	_Z24warp_load_guarded_kernelILj1024ELj4ELj1ELN7rocprim17ROCPRIM_304000_NS16warp_load_methodE2EdEvPT3_S4_iS3_,@function
_Z24warp_load_guarded_kernelILj1024ELj4ELj1ELN7rocprim17ROCPRIM_304000_NS16warp_load_methodE2EdEvPT3_S4_iS3_: ; @_Z24warp_load_guarded_kernelILj1024ELj4ELj1ELN7rocprim17ROCPRIM_304000_NS16warp_load_methodE2EdEvPT3_S4_iS3_
; %bb.0:
	s_load_dwordx4 s[8:11], s[4:5], 0x0
	s_load_dword s12, s[4:5], 0x10
	s_load_dwordx2 s[0:1], s[4:5], 0x18
	v_lshlrev_b32_e32 v1, 5, v0
	s_waitcnt lgkmcnt(0)
	v_mov_b32_e32 v2, s9
	v_add_co_u32_e32 v10, vcc, s8, v1
	v_addc_co_u32_e32 v11, vcc, 0, v2, vcc
	s_mov_b32 s2, s0
	s_mov_b32 s3, s1
	;; [unrolled: 1-line block ×5, first 2 shown]
	s_cmp_eq_u32 s12, 0
	s_mov_b32 s7, s1
	s_cbranch_scc1 .LBB41_8
; %bb.1:
	global_load_dwordx2 v[12:13], v[10:11], off
	v_pk_mov_b32 v[8:9], s[6:7], s[6:7] op_sel:[0,1]
	v_pk_mov_b32 v[2:3], s[0:1], s[0:1] op_sel:[0,1]
	;; [unrolled: 1-line block ×4, first 2 shown]
	s_waitcnt vmcnt(0)
	v_mov_b32_e32 v2, v12
	v_mov_b32_e32 v3, v13
	s_cmp_lt_u32 s12, 2
	s_cbranch_scc1 .LBB41_3
.LBB41_2:
	global_load_dwordx2 v[4:5], v[10:11], off offset:8
.LBB41_3:
	s_cmp_lt_u32 s12, 3
	v_lshlrev_b32_e32 v0, 2, v0
	s_cbranch_scc0 .LBB41_6
; %bb.4:
	s_cmp_lt_u32 s12, 4
	s_cbranch_scc0 .LBB41_7
.LBB41_5:
	v_lshlrev_b32_e32 v0, 3, v0
	s_waitcnt vmcnt(0)
	global_store_dwordx4 v0, v[2:5], s[10:11]
	global_store_dwordx4 v0, v[6:9], s[10:11] offset:16
	s_endpgm
.LBB41_6:
	global_load_dwordx2 v[6:7], v[10:11], off offset:16
	s_cmp_lt_u32 s12, 4
	s_cbranch_scc1 .LBB41_5
.LBB41_7:
	global_load_dwordx2 v[8:9], v[10:11], off offset:24
	v_lshlrev_b32_e32 v0, 3, v0
	s_waitcnt vmcnt(1)
	global_store_dwordx4 v0, v[2:5], s[10:11]
	s_waitcnt vmcnt(1)
	global_store_dwordx4 v0, v[6:9], s[10:11] offset:16
	s_endpgm
.LBB41_8:
	v_pk_mov_b32 v[8:9], s[6:7], s[6:7] op_sel:[0,1]
	v_pk_mov_b32 v[6:7], s[4:5], s[4:5] op_sel:[0,1]
	;; [unrolled: 1-line block ×4, first 2 shown]
	s_cmp_lt_u32 s12, 2
	s_cbranch_scc0 .LBB41_2
	s_branch .LBB41_3
	.section	.rodata,"a",@progbits
	.p2align	6, 0x0
	.amdhsa_kernel _Z24warp_load_guarded_kernelILj1024ELj4ELj1ELN7rocprim17ROCPRIM_304000_NS16warp_load_methodE2EdEvPT3_S4_iS3_
		.amdhsa_group_segment_fixed_size 0
		.amdhsa_private_segment_fixed_size 0
		.amdhsa_kernarg_size 32
		.amdhsa_user_sgpr_count 6
		.amdhsa_user_sgpr_private_segment_buffer 1
		.amdhsa_user_sgpr_dispatch_ptr 0
		.amdhsa_user_sgpr_queue_ptr 0
		.amdhsa_user_sgpr_kernarg_segment_ptr 1
		.amdhsa_user_sgpr_dispatch_id 0
		.amdhsa_user_sgpr_flat_scratch_init 0
		.amdhsa_user_sgpr_kernarg_preload_length 0
		.amdhsa_user_sgpr_kernarg_preload_offset 0
		.amdhsa_user_sgpr_private_segment_size 0
		.amdhsa_uses_dynamic_stack 0
		.amdhsa_system_sgpr_private_segment_wavefront_offset 0
		.amdhsa_system_sgpr_workgroup_id_x 1
		.amdhsa_system_sgpr_workgroup_id_y 0
		.amdhsa_system_sgpr_workgroup_id_z 0
		.amdhsa_system_sgpr_workgroup_info 0
		.amdhsa_system_vgpr_workitem_id 0
		.amdhsa_next_free_vgpr 14
		.amdhsa_next_free_sgpr 13
		.amdhsa_accum_offset 16
		.amdhsa_reserve_vcc 1
		.amdhsa_reserve_flat_scratch 0
		.amdhsa_float_round_mode_32 0
		.amdhsa_float_round_mode_16_64 0
		.amdhsa_float_denorm_mode_32 3
		.amdhsa_float_denorm_mode_16_64 3
		.amdhsa_dx10_clamp 1
		.amdhsa_ieee_mode 1
		.amdhsa_fp16_overflow 0
		.amdhsa_tg_split 0
		.amdhsa_exception_fp_ieee_invalid_op 0
		.amdhsa_exception_fp_denorm_src 0
		.amdhsa_exception_fp_ieee_div_zero 0
		.amdhsa_exception_fp_ieee_overflow 0
		.amdhsa_exception_fp_ieee_underflow 0
		.amdhsa_exception_fp_ieee_inexact 0
		.amdhsa_exception_int_div_zero 0
	.end_amdhsa_kernel
	.section	.text._Z24warp_load_guarded_kernelILj1024ELj4ELj1ELN7rocprim17ROCPRIM_304000_NS16warp_load_methodE2EdEvPT3_S4_iS3_,"axG",@progbits,_Z24warp_load_guarded_kernelILj1024ELj4ELj1ELN7rocprim17ROCPRIM_304000_NS16warp_load_methodE2EdEvPT3_S4_iS3_,comdat
.Lfunc_end41:
	.size	_Z24warp_load_guarded_kernelILj1024ELj4ELj1ELN7rocprim17ROCPRIM_304000_NS16warp_load_methodE2EdEvPT3_S4_iS3_, .Lfunc_end41-_Z24warp_load_guarded_kernelILj1024ELj4ELj1ELN7rocprim17ROCPRIM_304000_NS16warp_load_methodE2EdEvPT3_S4_iS3_
                                        ; -- End function
	.section	.AMDGPU.csdata,"",@progbits
; Kernel info:
; codeLenInByte = 292
; NumSgprs: 17
; NumVgprs: 14
; NumAgprs: 0
; TotalNumVgprs: 14
; ScratchSize: 0
; MemoryBound: 1
; FloatMode: 240
; IeeeMode: 1
; LDSByteSize: 0 bytes/workgroup (compile time only)
; SGPRBlocks: 2
; VGPRBlocks: 1
; NumSGPRsForWavesPerEU: 17
; NumVGPRsForWavesPerEU: 14
; AccumOffset: 16
; Occupancy: 8
; WaveLimiterHint : 0
; COMPUTE_PGM_RSRC2:SCRATCH_EN: 0
; COMPUTE_PGM_RSRC2:USER_SGPR: 6
; COMPUTE_PGM_RSRC2:TRAP_HANDLER: 0
; COMPUTE_PGM_RSRC2:TGID_X_EN: 1
; COMPUTE_PGM_RSRC2:TGID_Y_EN: 0
; COMPUTE_PGM_RSRC2:TGID_Z_EN: 0
; COMPUTE_PGM_RSRC2:TIDIG_COMP_CNT: 0
; COMPUTE_PGM_RSRC3_GFX90A:ACCUM_OFFSET: 3
; COMPUTE_PGM_RSRC3_GFX90A:TG_SPLIT: 0
	.section	.text._Z24warp_load_guarded_kernelILj1024ELj4ELj1ELN7rocprim17ROCPRIM_304000_NS16warp_load_methodE1EdEvPT3_S4_iS3_,"axG",@progbits,_Z24warp_load_guarded_kernelILj1024ELj4ELj1ELN7rocprim17ROCPRIM_304000_NS16warp_load_methodE1EdEvPT3_S4_iS3_,comdat
	.protected	_Z24warp_load_guarded_kernelILj1024ELj4ELj1ELN7rocprim17ROCPRIM_304000_NS16warp_load_methodE1EdEvPT3_S4_iS3_ ; -- Begin function _Z24warp_load_guarded_kernelILj1024ELj4ELj1ELN7rocprim17ROCPRIM_304000_NS16warp_load_methodE1EdEvPT3_S4_iS3_
	.globl	_Z24warp_load_guarded_kernelILj1024ELj4ELj1ELN7rocprim17ROCPRIM_304000_NS16warp_load_methodE1EdEvPT3_S4_iS3_
	.p2align	8
	.type	_Z24warp_load_guarded_kernelILj1024ELj4ELj1ELN7rocprim17ROCPRIM_304000_NS16warp_load_methodE1EdEvPT3_S4_iS3_,@function
_Z24warp_load_guarded_kernelILj1024ELj4ELj1ELN7rocprim17ROCPRIM_304000_NS16warp_load_methodE1EdEvPT3_S4_iS3_: ; @_Z24warp_load_guarded_kernelILj1024ELj4ELj1ELN7rocprim17ROCPRIM_304000_NS16warp_load_methodE1EdEvPT3_S4_iS3_
; %bb.0:
	s_load_dwordx4 s[8:11], s[4:5], 0x0
	s_load_dword s12, s[4:5], 0x10
	s_load_dwordx2 s[0:1], s[4:5], 0x18
	v_lshlrev_b32_e32 v1, 5, v0
	s_waitcnt lgkmcnt(0)
	v_mov_b32_e32 v2, s9
	v_add_co_u32_e32 v10, vcc, s8, v1
	v_addc_co_u32_e32 v11, vcc, 0, v2, vcc
	s_mov_b32 s2, s0
	s_mov_b32 s3, s1
	s_mov_b32 s4, s0
	s_mov_b32 s5, s1
	s_mov_b32 s6, s0
	s_cmp_eq_u32 s12, 0
	s_mov_b32 s7, s1
	s_cbranch_scc1 .LBB42_8
; %bb.1:
	global_load_dwordx2 v[12:13], v[10:11], off
	v_pk_mov_b32 v[8:9], s[6:7], s[6:7] op_sel:[0,1]
	v_pk_mov_b32 v[2:3], s[0:1], s[0:1] op_sel:[0,1]
	;; [unrolled: 1-line block ×4, first 2 shown]
	s_waitcnt vmcnt(0)
	v_mov_b32_e32 v2, v12
	v_mov_b32_e32 v3, v13
	s_cmp_lt_u32 s12, 2
	s_cbranch_scc1 .LBB42_3
.LBB42_2:
	global_load_dwordx2 v[4:5], v[10:11], off offset:8
.LBB42_3:
	s_cmp_lt_u32 s12, 3
	v_lshlrev_b32_e32 v0, 2, v0
	s_cbranch_scc0 .LBB42_6
; %bb.4:
	s_cmp_lt_u32 s12, 4
	s_cbranch_scc0 .LBB42_7
.LBB42_5:
	v_lshlrev_b32_e32 v0, 3, v0
	s_waitcnt vmcnt(0)
	global_store_dwordx4 v0, v[2:5], s[10:11]
	global_store_dwordx4 v0, v[6:9], s[10:11] offset:16
	s_endpgm
.LBB42_6:
	global_load_dwordx2 v[6:7], v[10:11], off offset:16
	s_cmp_lt_u32 s12, 4
	s_cbranch_scc1 .LBB42_5
.LBB42_7:
	global_load_dwordx2 v[8:9], v[10:11], off offset:24
	v_lshlrev_b32_e32 v0, 3, v0
	s_waitcnt vmcnt(1)
	global_store_dwordx4 v0, v[2:5], s[10:11]
	s_waitcnt vmcnt(1)
	global_store_dwordx4 v0, v[6:9], s[10:11] offset:16
	s_endpgm
.LBB42_8:
	v_pk_mov_b32 v[8:9], s[6:7], s[6:7] op_sel:[0,1]
	v_pk_mov_b32 v[6:7], s[4:5], s[4:5] op_sel:[0,1]
	;; [unrolled: 1-line block ×4, first 2 shown]
	s_cmp_lt_u32 s12, 2
	s_cbranch_scc0 .LBB42_2
	s_branch .LBB42_3
	.section	.rodata,"a",@progbits
	.p2align	6, 0x0
	.amdhsa_kernel _Z24warp_load_guarded_kernelILj1024ELj4ELj1ELN7rocprim17ROCPRIM_304000_NS16warp_load_methodE1EdEvPT3_S4_iS3_
		.amdhsa_group_segment_fixed_size 0
		.amdhsa_private_segment_fixed_size 0
		.amdhsa_kernarg_size 32
		.amdhsa_user_sgpr_count 6
		.amdhsa_user_sgpr_private_segment_buffer 1
		.amdhsa_user_sgpr_dispatch_ptr 0
		.amdhsa_user_sgpr_queue_ptr 0
		.amdhsa_user_sgpr_kernarg_segment_ptr 1
		.amdhsa_user_sgpr_dispatch_id 0
		.amdhsa_user_sgpr_flat_scratch_init 0
		.amdhsa_user_sgpr_kernarg_preload_length 0
		.amdhsa_user_sgpr_kernarg_preload_offset 0
		.amdhsa_user_sgpr_private_segment_size 0
		.amdhsa_uses_dynamic_stack 0
		.amdhsa_system_sgpr_private_segment_wavefront_offset 0
		.amdhsa_system_sgpr_workgroup_id_x 1
		.amdhsa_system_sgpr_workgroup_id_y 0
		.amdhsa_system_sgpr_workgroup_id_z 0
		.amdhsa_system_sgpr_workgroup_info 0
		.amdhsa_system_vgpr_workitem_id 0
		.amdhsa_next_free_vgpr 14
		.amdhsa_next_free_sgpr 13
		.amdhsa_accum_offset 16
		.amdhsa_reserve_vcc 1
		.amdhsa_reserve_flat_scratch 0
		.amdhsa_float_round_mode_32 0
		.amdhsa_float_round_mode_16_64 0
		.amdhsa_float_denorm_mode_32 3
		.amdhsa_float_denorm_mode_16_64 3
		.amdhsa_dx10_clamp 1
		.amdhsa_ieee_mode 1
		.amdhsa_fp16_overflow 0
		.amdhsa_tg_split 0
		.amdhsa_exception_fp_ieee_invalid_op 0
		.amdhsa_exception_fp_denorm_src 0
		.amdhsa_exception_fp_ieee_div_zero 0
		.amdhsa_exception_fp_ieee_overflow 0
		.amdhsa_exception_fp_ieee_underflow 0
		.amdhsa_exception_fp_ieee_inexact 0
		.amdhsa_exception_int_div_zero 0
	.end_amdhsa_kernel
	.section	.text._Z24warp_load_guarded_kernelILj1024ELj4ELj1ELN7rocprim17ROCPRIM_304000_NS16warp_load_methodE1EdEvPT3_S4_iS3_,"axG",@progbits,_Z24warp_load_guarded_kernelILj1024ELj4ELj1ELN7rocprim17ROCPRIM_304000_NS16warp_load_methodE1EdEvPT3_S4_iS3_,comdat
.Lfunc_end42:
	.size	_Z24warp_load_guarded_kernelILj1024ELj4ELj1ELN7rocprim17ROCPRIM_304000_NS16warp_load_methodE1EdEvPT3_S4_iS3_, .Lfunc_end42-_Z24warp_load_guarded_kernelILj1024ELj4ELj1ELN7rocprim17ROCPRIM_304000_NS16warp_load_methodE1EdEvPT3_S4_iS3_
                                        ; -- End function
	.section	.AMDGPU.csdata,"",@progbits
; Kernel info:
; codeLenInByte = 292
; NumSgprs: 17
; NumVgprs: 14
; NumAgprs: 0
; TotalNumVgprs: 14
; ScratchSize: 0
; MemoryBound: 1
; FloatMode: 240
; IeeeMode: 1
; LDSByteSize: 0 bytes/workgroup (compile time only)
; SGPRBlocks: 2
; VGPRBlocks: 1
; NumSGPRsForWavesPerEU: 17
; NumVGPRsForWavesPerEU: 14
; AccumOffset: 16
; Occupancy: 8
; WaveLimiterHint : 0
; COMPUTE_PGM_RSRC2:SCRATCH_EN: 0
; COMPUTE_PGM_RSRC2:USER_SGPR: 6
; COMPUTE_PGM_RSRC2:TRAP_HANDLER: 0
; COMPUTE_PGM_RSRC2:TGID_X_EN: 1
; COMPUTE_PGM_RSRC2:TGID_Y_EN: 0
; COMPUTE_PGM_RSRC2:TGID_Z_EN: 0
; COMPUTE_PGM_RSRC2:TIDIG_COMP_CNT: 0
; COMPUTE_PGM_RSRC3_GFX90A:ACCUM_OFFSET: 3
; COMPUTE_PGM_RSRC3_GFX90A:TG_SPLIT: 0
	.section	.text._Z24warp_load_guarded_kernelILj1024ELj4ELj1ELN7rocprim17ROCPRIM_304000_NS16warp_load_methodE0EdEvPT3_S4_iS3_,"axG",@progbits,_Z24warp_load_guarded_kernelILj1024ELj4ELj1ELN7rocprim17ROCPRIM_304000_NS16warp_load_methodE0EdEvPT3_S4_iS3_,comdat
	.protected	_Z24warp_load_guarded_kernelILj1024ELj4ELj1ELN7rocprim17ROCPRIM_304000_NS16warp_load_methodE0EdEvPT3_S4_iS3_ ; -- Begin function _Z24warp_load_guarded_kernelILj1024ELj4ELj1ELN7rocprim17ROCPRIM_304000_NS16warp_load_methodE0EdEvPT3_S4_iS3_
	.globl	_Z24warp_load_guarded_kernelILj1024ELj4ELj1ELN7rocprim17ROCPRIM_304000_NS16warp_load_methodE0EdEvPT3_S4_iS3_
	.p2align	8
	.type	_Z24warp_load_guarded_kernelILj1024ELj4ELj1ELN7rocprim17ROCPRIM_304000_NS16warp_load_methodE0EdEvPT3_S4_iS3_,@function
_Z24warp_load_guarded_kernelILj1024ELj4ELj1ELN7rocprim17ROCPRIM_304000_NS16warp_load_methodE0EdEvPT3_S4_iS3_: ; @_Z24warp_load_guarded_kernelILj1024ELj4ELj1ELN7rocprim17ROCPRIM_304000_NS16warp_load_methodE0EdEvPT3_S4_iS3_
; %bb.0:
	s_load_dwordx4 s[8:11], s[4:5], 0x0
	s_load_dword s12, s[4:5], 0x10
	s_load_dwordx2 s[0:1], s[4:5], 0x18
	v_lshlrev_b32_e32 v1, 5, v0
	s_waitcnt lgkmcnt(0)
	v_mov_b32_e32 v2, s9
	v_add_co_u32_e32 v10, vcc, s8, v1
	v_addc_co_u32_e32 v11, vcc, 0, v2, vcc
	s_mov_b32 s2, s0
	s_mov_b32 s3, s1
	;; [unrolled: 1-line block ×5, first 2 shown]
	s_cmp_eq_u32 s12, 0
	s_mov_b32 s7, s1
	s_cbranch_scc1 .LBB43_8
; %bb.1:
	global_load_dwordx2 v[12:13], v[10:11], off
	v_pk_mov_b32 v[8:9], s[6:7], s[6:7] op_sel:[0,1]
	v_pk_mov_b32 v[2:3], s[0:1], s[0:1] op_sel:[0,1]
	;; [unrolled: 1-line block ×4, first 2 shown]
	s_waitcnt vmcnt(0)
	v_mov_b32_e32 v2, v12
	v_mov_b32_e32 v3, v13
	s_cmp_lt_u32 s12, 2
	s_cbranch_scc1 .LBB43_3
.LBB43_2:
	global_load_dwordx2 v[4:5], v[10:11], off offset:8
.LBB43_3:
	s_cmp_lt_u32 s12, 3
	v_lshlrev_b32_e32 v0, 2, v0
	s_cbranch_scc0 .LBB43_6
; %bb.4:
	s_cmp_lt_u32 s12, 4
	s_cbranch_scc0 .LBB43_7
.LBB43_5:
	v_lshlrev_b32_e32 v0, 3, v0
	s_waitcnt vmcnt(0)
	global_store_dwordx4 v0, v[2:5], s[10:11]
	global_store_dwordx4 v0, v[6:9], s[10:11] offset:16
	s_endpgm
.LBB43_6:
	global_load_dwordx2 v[6:7], v[10:11], off offset:16
	s_cmp_lt_u32 s12, 4
	s_cbranch_scc1 .LBB43_5
.LBB43_7:
	global_load_dwordx2 v[8:9], v[10:11], off offset:24
	v_lshlrev_b32_e32 v0, 3, v0
	s_waitcnt vmcnt(1)
	global_store_dwordx4 v0, v[2:5], s[10:11]
	s_waitcnt vmcnt(1)
	global_store_dwordx4 v0, v[6:9], s[10:11] offset:16
	s_endpgm
.LBB43_8:
	v_pk_mov_b32 v[8:9], s[6:7], s[6:7] op_sel:[0,1]
	v_pk_mov_b32 v[6:7], s[4:5], s[4:5] op_sel:[0,1]
	;; [unrolled: 1-line block ×4, first 2 shown]
	s_cmp_lt_u32 s12, 2
	s_cbranch_scc0 .LBB43_2
	s_branch .LBB43_3
	.section	.rodata,"a",@progbits
	.p2align	6, 0x0
	.amdhsa_kernel _Z24warp_load_guarded_kernelILj1024ELj4ELj1ELN7rocprim17ROCPRIM_304000_NS16warp_load_methodE0EdEvPT3_S4_iS3_
		.amdhsa_group_segment_fixed_size 0
		.amdhsa_private_segment_fixed_size 0
		.amdhsa_kernarg_size 32
		.amdhsa_user_sgpr_count 6
		.amdhsa_user_sgpr_private_segment_buffer 1
		.amdhsa_user_sgpr_dispatch_ptr 0
		.amdhsa_user_sgpr_queue_ptr 0
		.amdhsa_user_sgpr_kernarg_segment_ptr 1
		.amdhsa_user_sgpr_dispatch_id 0
		.amdhsa_user_sgpr_flat_scratch_init 0
		.amdhsa_user_sgpr_kernarg_preload_length 0
		.amdhsa_user_sgpr_kernarg_preload_offset 0
		.amdhsa_user_sgpr_private_segment_size 0
		.amdhsa_uses_dynamic_stack 0
		.amdhsa_system_sgpr_private_segment_wavefront_offset 0
		.amdhsa_system_sgpr_workgroup_id_x 1
		.amdhsa_system_sgpr_workgroup_id_y 0
		.amdhsa_system_sgpr_workgroup_id_z 0
		.amdhsa_system_sgpr_workgroup_info 0
		.amdhsa_system_vgpr_workitem_id 0
		.amdhsa_next_free_vgpr 14
		.amdhsa_next_free_sgpr 13
		.amdhsa_accum_offset 16
		.amdhsa_reserve_vcc 1
		.amdhsa_reserve_flat_scratch 0
		.amdhsa_float_round_mode_32 0
		.amdhsa_float_round_mode_16_64 0
		.amdhsa_float_denorm_mode_32 3
		.amdhsa_float_denorm_mode_16_64 3
		.amdhsa_dx10_clamp 1
		.amdhsa_ieee_mode 1
		.amdhsa_fp16_overflow 0
		.amdhsa_tg_split 0
		.amdhsa_exception_fp_ieee_invalid_op 0
		.amdhsa_exception_fp_denorm_src 0
		.amdhsa_exception_fp_ieee_div_zero 0
		.amdhsa_exception_fp_ieee_overflow 0
		.amdhsa_exception_fp_ieee_underflow 0
		.amdhsa_exception_fp_ieee_inexact 0
		.amdhsa_exception_int_div_zero 0
	.end_amdhsa_kernel
	.section	.text._Z24warp_load_guarded_kernelILj1024ELj4ELj1ELN7rocprim17ROCPRIM_304000_NS16warp_load_methodE0EdEvPT3_S4_iS3_,"axG",@progbits,_Z24warp_load_guarded_kernelILj1024ELj4ELj1ELN7rocprim17ROCPRIM_304000_NS16warp_load_methodE0EdEvPT3_S4_iS3_,comdat
.Lfunc_end43:
	.size	_Z24warp_load_guarded_kernelILj1024ELj4ELj1ELN7rocprim17ROCPRIM_304000_NS16warp_load_methodE0EdEvPT3_S4_iS3_, .Lfunc_end43-_Z24warp_load_guarded_kernelILj1024ELj4ELj1ELN7rocprim17ROCPRIM_304000_NS16warp_load_methodE0EdEvPT3_S4_iS3_
                                        ; -- End function
	.section	.AMDGPU.csdata,"",@progbits
; Kernel info:
; codeLenInByte = 292
; NumSgprs: 17
; NumVgprs: 14
; NumAgprs: 0
; TotalNumVgprs: 14
; ScratchSize: 0
; MemoryBound: 1
; FloatMode: 240
; IeeeMode: 1
; LDSByteSize: 0 bytes/workgroup (compile time only)
; SGPRBlocks: 2
; VGPRBlocks: 1
; NumSGPRsForWavesPerEU: 17
; NumVGPRsForWavesPerEU: 14
; AccumOffset: 16
; Occupancy: 8
; WaveLimiterHint : 0
; COMPUTE_PGM_RSRC2:SCRATCH_EN: 0
; COMPUTE_PGM_RSRC2:USER_SGPR: 6
; COMPUTE_PGM_RSRC2:TRAP_HANDLER: 0
; COMPUTE_PGM_RSRC2:TGID_X_EN: 1
; COMPUTE_PGM_RSRC2:TGID_Y_EN: 0
; COMPUTE_PGM_RSRC2:TGID_Z_EN: 0
; COMPUTE_PGM_RSRC2:TIDIG_COMP_CNT: 0
; COMPUTE_PGM_RSRC3_GFX90A:ACCUM_OFFSET: 3
; COMPUTE_PGM_RSRC3_GFX90A:TG_SPLIT: 0
	.section	.text._Z24warp_load_guarded_kernelILj1024ELj4ELj1ELN7rocprim17ROCPRIM_304000_NS16warp_load_methodE3EfEvPT3_S4_iS3_,"axG",@progbits,_Z24warp_load_guarded_kernelILj1024ELj4ELj1ELN7rocprim17ROCPRIM_304000_NS16warp_load_methodE3EfEvPT3_S4_iS3_,comdat
	.protected	_Z24warp_load_guarded_kernelILj1024ELj4ELj1ELN7rocprim17ROCPRIM_304000_NS16warp_load_methodE3EfEvPT3_S4_iS3_ ; -- Begin function _Z24warp_load_guarded_kernelILj1024ELj4ELj1ELN7rocprim17ROCPRIM_304000_NS16warp_load_methodE3EfEvPT3_S4_iS3_
	.globl	_Z24warp_load_guarded_kernelILj1024ELj4ELj1ELN7rocprim17ROCPRIM_304000_NS16warp_load_methodE3EfEvPT3_S4_iS3_
	.p2align	8
	.type	_Z24warp_load_guarded_kernelILj1024ELj4ELj1ELN7rocprim17ROCPRIM_304000_NS16warp_load_methodE3EfEvPT3_S4_iS3_,@function
_Z24warp_load_guarded_kernelILj1024ELj4ELj1ELN7rocprim17ROCPRIM_304000_NS16warp_load_methodE3EfEvPT3_S4_iS3_: ; @_Z24warp_load_guarded_kernelILj1024ELj4ELj1ELN7rocprim17ROCPRIM_304000_NS16warp_load_methodE3EfEvPT3_S4_iS3_
; %bb.0:
	s_load_dwordx4 s[0:3], s[4:5], 0x0
	s_load_dwordx2 s[8:9], s[4:5], 0x10
	v_lshlrev_b32_e32 v1, 4, v0
	s_waitcnt lgkmcnt(0)
	v_mov_b32_e32 v2, s1
	v_add_co_u32_e32 v8, vcc, s0, v1
	v_addc_co_u32_e32 v9, vcc, 0, v2, vcc
	s_mov_b32 s4, s9
	s_mov_b32 s5, s9
	;; [unrolled: 1-line block ×3, first 2 shown]
	s_cmp_eq_u32 s8, 0
	s_mov_b32 s7, s9
	s_cbranch_scc1 .LBB44_8
; %bb.1:
	global_load_dword v2, v[8:9], off
	v_pk_mov_b32 v[4:5], s[4:5], s[4:5] op_sel:[0,1]
	v_pk_mov_b32 v[6:7], s[6:7], s[6:7] op_sel:[0,1]
                                        ; kill: def $vgpr4 killed $vgpr2 killed $exec
	s_cmp_lt_u32 s8, 2
	s_cbranch_scc1 .LBB44_3
.LBB44_2:
	global_load_dword v5, v[8:9], off offset:4
.LBB44_3:
	s_cmp_lt_u32 s8, 3
	v_lshlrev_b32_e32 v0, 2, v0
	s_cbranch_scc0 .LBB44_7
; %bb.4:
	s_cmp_lt_u32 s8, 4
	s_cbranch_scc1 .LBB44_6
.LBB44_5:
	global_load_dword v7, v[8:9], off offset:12
.LBB44_6:
	s_waitcnt vmcnt(0)
	v_mov_b32_e32 v3, v5
	v_mov_b32_e32 v4, v6
	;; [unrolled: 1-line block ×3, first 2 shown]
	ds_write_b128 v1, v[2:5]
	; wave barrier
	ds_read_b128 v[2:5], v1
	v_lshlrev_b32_e32 v0, 2, v0
	s_waitcnt lgkmcnt(0)
	global_store_dwordx4 v0, v[2:5], s[2:3]
	s_endpgm
.LBB44_7:
	global_load_dword v6, v[8:9], off offset:8
	s_cmp_lt_u32 s8, 4
	s_cbranch_scc0 .LBB44_5
	s_branch .LBB44_6
.LBB44_8:
	v_pk_mov_b32 v[4:5], s[4:5], s[4:5] op_sel:[0,1]
	v_pk_mov_b32 v[6:7], s[6:7], s[6:7] op_sel:[0,1]
	v_mov_b32_e32 v2, s9
	s_cmp_lt_u32 s8, 2
	s_cbranch_scc0 .LBB44_2
	s_branch .LBB44_3
	.section	.rodata,"a",@progbits
	.p2align	6, 0x0
	.amdhsa_kernel _Z24warp_load_guarded_kernelILj1024ELj4ELj1ELN7rocprim17ROCPRIM_304000_NS16warp_load_methodE3EfEvPT3_S4_iS3_
		.amdhsa_group_segment_fixed_size 16384
		.amdhsa_private_segment_fixed_size 0
		.amdhsa_kernarg_size 24
		.amdhsa_user_sgpr_count 6
		.amdhsa_user_sgpr_private_segment_buffer 1
		.amdhsa_user_sgpr_dispatch_ptr 0
		.amdhsa_user_sgpr_queue_ptr 0
		.amdhsa_user_sgpr_kernarg_segment_ptr 1
		.amdhsa_user_sgpr_dispatch_id 0
		.amdhsa_user_sgpr_flat_scratch_init 0
		.amdhsa_user_sgpr_kernarg_preload_length 0
		.amdhsa_user_sgpr_kernarg_preload_offset 0
		.amdhsa_user_sgpr_private_segment_size 0
		.amdhsa_uses_dynamic_stack 0
		.amdhsa_system_sgpr_private_segment_wavefront_offset 0
		.amdhsa_system_sgpr_workgroup_id_x 1
		.amdhsa_system_sgpr_workgroup_id_y 0
		.amdhsa_system_sgpr_workgroup_id_z 0
		.amdhsa_system_sgpr_workgroup_info 0
		.amdhsa_system_vgpr_workitem_id 0
		.amdhsa_next_free_vgpr 10
		.amdhsa_next_free_sgpr 10
		.amdhsa_accum_offset 12
		.amdhsa_reserve_vcc 1
		.amdhsa_reserve_flat_scratch 0
		.amdhsa_float_round_mode_32 0
		.amdhsa_float_round_mode_16_64 0
		.amdhsa_float_denorm_mode_32 3
		.amdhsa_float_denorm_mode_16_64 3
		.amdhsa_dx10_clamp 1
		.amdhsa_ieee_mode 1
		.amdhsa_fp16_overflow 0
		.amdhsa_tg_split 0
		.amdhsa_exception_fp_ieee_invalid_op 0
		.amdhsa_exception_fp_denorm_src 0
		.amdhsa_exception_fp_ieee_div_zero 0
		.amdhsa_exception_fp_ieee_overflow 0
		.amdhsa_exception_fp_ieee_underflow 0
		.amdhsa_exception_fp_ieee_inexact 0
		.amdhsa_exception_int_div_zero 0
	.end_amdhsa_kernel
	.section	.text._Z24warp_load_guarded_kernelILj1024ELj4ELj1ELN7rocprim17ROCPRIM_304000_NS16warp_load_methodE3EfEvPT3_S4_iS3_,"axG",@progbits,_Z24warp_load_guarded_kernelILj1024ELj4ELj1ELN7rocprim17ROCPRIM_304000_NS16warp_load_methodE3EfEvPT3_S4_iS3_,comdat
.Lfunc_end44:
	.size	_Z24warp_load_guarded_kernelILj1024ELj4ELj1ELN7rocprim17ROCPRIM_304000_NS16warp_load_methodE3EfEvPT3_S4_iS3_, .Lfunc_end44-_Z24warp_load_guarded_kernelILj1024ELj4ELj1ELN7rocprim17ROCPRIM_304000_NS16warp_load_methodE3EfEvPT3_S4_iS3_
                                        ; -- End function
	.section	.AMDGPU.csdata,"",@progbits
; Kernel info:
; codeLenInByte = 232
; NumSgprs: 14
; NumVgprs: 10
; NumAgprs: 0
; TotalNumVgprs: 10
; ScratchSize: 0
; MemoryBound: 0
; FloatMode: 240
; IeeeMode: 1
; LDSByteSize: 16384 bytes/workgroup (compile time only)
; SGPRBlocks: 1
; VGPRBlocks: 1
; NumSGPRsForWavesPerEU: 14
; NumVGPRsForWavesPerEU: 10
; AccumOffset: 12
; Occupancy: 8
; WaveLimiterHint : 0
; COMPUTE_PGM_RSRC2:SCRATCH_EN: 0
; COMPUTE_PGM_RSRC2:USER_SGPR: 6
; COMPUTE_PGM_RSRC2:TRAP_HANDLER: 0
; COMPUTE_PGM_RSRC2:TGID_X_EN: 1
; COMPUTE_PGM_RSRC2:TGID_Y_EN: 0
; COMPUTE_PGM_RSRC2:TGID_Z_EN: 0
; COMPUTE_PGM_RSRC2:TIDIG_COMP_CNT: 0
; COMPUTE_PGM_RSRC3_GFX90A:ACCUM_OFFSET: 2
; COMPUTE_PGM_RSRC3_GFX90A:TG_SPLIT: 0
	.section	.text._Z24warp_load_guarded_kernelILj1024ELj4ELj1ELN7rocprim17ROCPRIM_304000_NS16warp_load_methodE2EfEvPT3_S4_iS3_,"axG",@progbits,_Z24warp_load_guarded_kernelILj1024ELj4ELj1ELN7rocprim17ROCPRIM_304000_NS16warp_load_methodE2EfEvPT3_S4_iS3_,comdat
	.protected	_Z24warp_load_guarded_kernelILj1024ELj4ELj1ELN7rocprim17ROCPRIM_304000_NS16warp_load_methodE2EfEvPT3_S4_iS3_ ; -- Begin function _Z24warp_load_guarded_kernelILj1024ELj4ELj1ELN7rocprim17ROCPRIM_304000_NS16warp_load_methodE2EfEvPT3_S4_iS3_
	.globl	_Z24warp_load_guarded_kernelILj1024ELj4ELj1ELN7rocprim17ROCPRIM_304000_NS16warp_load_methodE2EfEvPT3_S4_iS3_
	.p2align	8
	.type	_Z24warp_load_guarded_kernelILj1024ELj4ELj1ELN7rocprim17ROCPRIM_304000_NS16warp_load_methodE2EfEvPT3_S4_iS3_,@function
_Z24warp_load_guarded_kernelILj1024ELj4ELj1ELN7rocprim17ROCPRIM_304000_NS16warp_load_methodE2EfEvPT3_S4_iS3_: ; @_Z24warp_load_guarded_kernelILj1024ELj4ELj1ELN7rocprim17ROCPRIM_304000_NS16warp_load_methodE2EfEvPT3_S4_iS3_
; %bb.0:
	s_load_dwordx4 s[0:3], s[4:5], 0x0
	s_load_dwordx2 s[8:9], s[4:5], 0x10
	v_lshlrev_b32_e32 v1, 4, v0
	s_waitcnt lgkmcnt(0)
	v_mov_b32_e32 v2, s1
	v_add_co_u32_e32 v6, vcc, s0, v1
	v_addc_co_u32_e32 v7, vcc, 0, v2, vcc
	s_mov_b32 s4, s9
	s_mov_b32 s5, s9
	;; [unrolled: 1-line block ×3, first 2 shown]
	s_cmp_eq_u32 s8, 0
	s_mov_b32 s7, s9
	s_cbranch_scc1 .LBB45_8
; %bb.1:
	global_load_dword v1, v[6:7], off
	v_pk_mov_b32 v[2:3], s[4:5], s[4:5] op_sel:[0,1]
	v_pk_mov_b32 v[4:5], s[6:7], s[6:7] op_sel:[0,1]
	s_waitcnt vmcnt(0)
	v_mov_b32_e32 v2, v1
	s_cmp_lt_u32 s8, 2
	s_cbranch_scc1 .LBB45_3
.LBB45_2:
	global_load_dword v3, v[6:7], off offset:4
.LBB45_3:
	s_cmp_lt_u32 s8, 3
	v_lshlrev_b32_e32 v0, 2, v0
	s_cbranch_scc0 .LBB45_6
; %bb.4:
	s_cmp_lt_u32 s8, 4
	s_cbranch_scc0 .LBB45_7
.LBB45_5:
	v_lshlrev_b32_e32 v0, 2, v0
	s_waitcnt vmcnt(0)
	global_store_dwordx4 v0, v[2:5], s[2:3]
	s_endpgm
.LBB45_6:
	global_load_dword v4, v[6:7], off offset:8
	s_cmp_lt_u32 s8, 4
	s_cbranch_scc1 .LBB45_5
.LBB45_7:
	global_load_dword v5, v[6:7], off offset:12
	v_lshlrev_b32_e32 v0, 2, v0
	s_waitcnt vmcnt(0)
	global_store_dwordx4 v0, v[2:5], s[2:3]
	s_endpgm
.LBB45_8:
	v_pk_mov_b32 v[2:3], s[4:5], s[4:5] op_sel:[0,1]
	v_pk_mov_b32 v[4:5], s[6:7], s[6:7] op_sel:[0,1]
	s_cmp_lt_u32 s8, 2
	s_cbranch_scc0 .LBB45_2
	s_branch .LBB45_3
	.section	.rodata,"a",@progbits
	.p2align	6, 0x0
	.amdhsa_kernel _Z24warp_load_guarded_kernelILj1024ELj4ELj1ELN7rocprim17ROCPRIM_304000_NS16warp_load_methodE2EfEvPT3_S4_iS3_
		.amdhsa_group_segment_fixed_size 0
		.amdhsa_private_segment_fixed_size 0
		.amdhsa_kernarg_size 24
		.amdhsa_user_sgpr_count 6
		.amdhsa_user_sgpr_private_segment_buffer 1
		.amdhsa_user_sgpr_dispatch_ptr 0
		.amdhsa_user_sgpr_queue_ptr 0
		.amdhsa_user_sgpr_kernarg_segment_ptr 1
		.amdhsa_user_sgpr_dispatch_id 0
		.amdhsa_user_sgpr_flat_scratch_init 0
		.amdhsa_user_sgpr_kernarg_preload_length 0
		.amdhsa_user_sgpr_kernarg_preload_offset 0
		.amdhsa_user_sgpr_private_segment_size 0
		.amdhsa_uses_dynamic_stack 0
		.amdhsa_system_sgpr_private_segment_wavefront_offset 0
		.amdhsa_system_sgpr_workgroup_id_x 1
		.amdhsa_system_sgpr_workgroup_id_y 0
		.amdhsa_system_sgpr_workgroup_id_z 0
		.amdhsa_system_sgpr_workgroup_info 0
		.amdhsa_system_vgpr_workitem_id 0
		.amdhsa_next_free_vgpr 8
		.amdhsa_next_free_sgpr 10
		.amdhsa_accum_offset 8
		.amdhsa_reserve_vcc 1
		.amdhsa_reserve_flat_scratch 0
		.amdhsa_float_round_mode_32 0
		.amdhsa_float_round_mode_16_64 0
		.amdhsa_float_denorm_mode_32 3
		.amdhsa_float_denorm_mode_16_64 3
		.amdhsa_dx10_clamp 1
		.amdhsa_ieee_mode 1
		.amdhsa_fp16_overflow 0
		.amdhsa_tg_split 0
		.amdhsa_exception_fp_ieee_invalid_op 0
		.amdhsa_exception_fp_denorm_src 0
		.amdhsa_exception_fp_ieee_div_zero 0
		.amdhsa_exception_fp_ieee_overflow 0
		.amdhsa_exception_fp_ieee_underflow 0
		.amdhsa_exception_fp_ieee_inexact 0
		.amdhsa_exception_int_div_zero 0
	.end_amdhsa_kernel
	.section	.text._Z24warp_load_guarded_kernelILj1024ELj4ELj1ELN7rocprim17ROCPRIM_304000_NS16warp_load_methodE2EfEvPT3_S4_iS3_,"axG",@progbits,_Z24warp_load_guarded_kernelILj1024ELj4ELj1ELN7rocprim17ROCPRIM_304000_NS16warp_load_methodE2EfEvPT3_S4_iS3_,comdat
.Lfunc_end45:
	.size	_Z24warp_load_guarded_kernelILj1024ELj4ELj1ELN7rocprim17ROCPRIM_304000_NS16warp_load_methodE2EfEvPT3_S4_iS3_, .Lfunc_end45-_Z24warp_load_guarded_kernelILj1024ELj4ELj1ELN7rocprim17ROCPRIM_304000_NS16warp_load_methodE2EfEvPT3_S4_iS3_
                                        ; -- End function
	.section	.AMDGPU.csdata,"",@progbits
; Kernel info:
; codeLenInByte = 220
; NumSgprs: 14
; NumVgprs: 8
; NumAgprs: 0
; TotalNumVgprs: 8
; ScratchSize: 0
; MemoryBound: 0
; FloatMode: 240
; IeeeMode: 1
; LDSByteSize: 0 bytes/workgroup (compile time only)
; SGPRBlocks: 1
; VGPRBlocks: 0
; NumSGPRsForWavesPerEU: 14
; NumVGPRsForWavesPerEU: 8
; AccumOffset: 8
; Occupancy: 8
; WaveLimiterHint : 0
; COMPUTE_PGM_RSRC2:SCRATCH_EN: 0
; COMPUTE_PGM_RSRC2:USER_SGPR: 6
; COMPUTE_PGM_RSRC2:TRAP_HANDLER: 0
; COMPUTE_PGM_RSRC2:TGID_X_EN: 1
; COMPUTE_PGM_RSRC2:TGID_Y_EN: 0
; COMPUTE_PGM_RSRC2:TGID_Z_EN: 0
; COMPUTE_PGM_RSRC2:TIDIG_COMP_CNT: 0
; COMPUTE_PGM_RSRC3_GFX90A:ACCUM_OFFSET: 1
; COMPUTE_PGM_RSRC3_GFX90A:TG_SPLIT: 0
	.section	.text._Z24warp_load_guarded_kernelILj1024ELj4ELj1ELN7rocprim17ROCPRIM_304000_NS16warp_load_methodE1EfEvPT3_S4_iS3_,"axG",@progbits,_Z24warp_load_guarded_kernelILj1024ELj4ELj1ELN7rocprim17ROCPRIM_304000_NS16warp_load_methodE1EfEvPT3_S4_iS3_,comdat
	.protected	_Z24warp_load_guarded_kernelILj1024ELj4ELj1ELN7rocprim17ROCPRIM_304000_NS16warp_load_methodE1EfEvPT3_S4_iS3_ ; -- Begin function _Z24warp_load_guarded_kernelILj1024ELj4ELj1ELN7rocprim17ROCPRIM_304000_NS16warp_load_methodE1EfEvPT3_S4_iS3_
	.globl	_Z24warp_load_guarded_kernelILj1024ELj4ELj1ELN7rocprim17ROCPRIM_304000_NS16warp_load_methodE1EfEvPT3_S4_iS3_
	.p2align	8
	.type	_Z24warp_load_guarded_kernelILj1024ELj4ELj1ELN7rocprim17ROCPRIM_304000_NS16warp_load_methodE1EfEvPT3_S4_iS3_,@function
_Z24warp_load_guarded_kernelILj1024ELj4ELj1ELN7rocprim17ROCPRIM_304000_NS16warp_load_methodE1EfEvPT3_S4_iS3_: ; @_Z24warp_load_guarded_kernelILj1024ELj4ELj1ELN7rocprim17ROCPRIM_304000_NS16warp_load_methodE1EfEvPT3_S4_iS3_
; %bb.0:
	s_load_dwordx4 s[0:3], s[4:5], 0x0
	s_load_dwordx2 s[8:9], s[4:5], 0x10
	v_lshlrev_b32_e32 v1, 4, v0
	s_waitcnt lgkmcnt(0)
	v_mov_b32_e32 v2, s1
	v_add_co_u32_e32 v6, vcc, s0, v1
	v_addc_co_u32_e32 v7, vcc, 0, v2, vcc
	s_mov_b32 s4, s9
	s_mov_b32 s5, s9
	;; [unrolled: 1-line block ×3, first 2 shown]
	s_cmp_eq_u32 s8, 0
	s_mov_b32 s7, s9
	s_cbranch_scc1 .LBB46_8
; %bb.1:
	global_load_dword v1, v[6:7], off
	v_pk_mov_b32 v[2:3], s[4:5], s[4:5] op_sel:[0,1]
	v_pk_mov_b32 v[4:5], s[6:7], s[6:7] op_sel:[0,1]
	s_waitcnt vmcnt(0)
	v_mov_b32_e32 v2, v1
	s_cmp_lt_u32 s8, 2
	s_cbranch_scc1 .LBB46_3
.LBB46_2:
	global_load_dword v3, v[6:7], off offset:4
.LBB46_3:
	s_cmp_lt_u32 s8, 3
	v_lshlrev_b32_e32 v0, 2, v0
	s_cbranch_scc0 .LBB46_6
; %bb.4:
	s_cmp_lt_u32 s8, 4
	s_cbranch_scc0 .LBB46_7
.LBB46_5:
	v_lshlrev_b32_e32 v0, 2, v0
	s_waitcnt vmcnt(0)
	global_store_dwordx4 v0, v[2:5], s[2:3]
	s_endpgm
.LBB46_6:
	global_load_dword v4, v[6:7], off offset:8
	s_cmp_lt_u32 s8, 4
	s_cbranch_scc1 .LBB46_5
.LBB46_7:
	global_load_dword v5, v[6:7], off offset:12
	v_lshlrev_b32_e32 v0, 2, v0
	s_waitcnt vmcnt(0)
	global_store_dwordx4 v0, v[2:5], s[2:3]
	s_endpgm
.LBB46_8:
	v_pk_mov_b32 v[2:3], s[4:5], s[4:5] op_sel:[0,1]
	v_pk_mov_b32 v[4:5], s[6:7], s[6:7] op_sel:[0,1]
	s_cmp_lt_u32 s8, 2
	s_cbranch_scc0 .LBB46_2
	s_branch .LBB46_3
	.section	.rodata,"a",@progbits
	.p2align	6, 0x0
	.amdhsa_kernel _Z24warp_load_guarded_kernelILj1024ELj4ELj1ELN7rocprim17ROCPRIM_304000_NS16warp_load_methodE1EfEvPT3_S4_iS3_
		.amdhsa_group_segment_fixed_size 0
		.amdhsa_private_segment_fixed_size 0
		.amdhsa_kernarg_size 24
		.amdhsa_user_sgpr_count 6
		.amdhsa_user_sgpr_private_segment_buffer 1
		.amdhsa_user_sgpr_dispatch_ptr 0
		.amdhsa_user_sgpr_queue_ptr 0
		.amdhsa_user_sgpr_kernarg_segment_ptr 1
		.amdhsa_user_sgpr_dispatch_id 0
		.amdhsa_user_sgpr_flat_scratch_init 0
		.amdhsa_user_sgpr_kernarg_preload_length 0
		.amdhsa_user_sgpr_kernarg_preload_offset 0
		.amdhsa_user_sgpr_private_segment_size 0
		.amdhsa_uses_dynamic_stack 0
		.amdhsa_system_sgpr_private_segment_wavefront_offset 0
		.amdhsa_system_sgpr_workgroup_id_x 1
		.amdhsa_system_sgpr_workgroup_id_y 0
		.amdhsa_system_sgpr_workgroup_id_z 0
		.amdhsa_system_sgpr_workgroup_info 0
		.amdhsa_system_vgpr_workitem_id 0
		.amdhsa_next_free_vgpr 8
		.amdhsa_next_free_sgpr 10
		.amdhsa_accum_offset 8
		.amdhsa_reserve_vcc 1
		.amdhsa_reserve_flat_scratch 0
		.amdhsa_float_round_mode_32 0
		.amdhsa_float_round_mode_16_64 0
		.amdhsa_float_denorm_mode_32 3
		.amdhsa_float_denorm_mode_16_64 3
		.amdhsa_dx10_clamp 1
		.amdhsa_ieee_mode 1
		.amdhsa_fp16_overflow 0
		.amdhsa_tg_split 0
		.amdhsa_exception_fp_ieee_invalid_op 0
		.amdhsa_exception_fp_denorm_src 0
		.amdhsa_exception_fp_ieee_div_zero 0
		.amdhsa_exception_fp_ieee_overflow 0
		.amdhsa_exception_fp_ieee_underflow 0
		.amdhsa_exception_fp_ieee_inexact 0
		.amdhsa_exception_int_div_zero 0
	.end_amdhsa_kernel
	.section	.text._Z24warp_load_guarded_kernelILj1024ELj4ELj1ELN7rocprim17ROCPRIM_304000_NS16warp_load_methodE1EfEvPT3_S4_iS3_,"axG",@progbits,_Z24warp_load_guarded_kernelILj1024ELj4ELj1ELN7rocprim17ROCPRIM_304000_NS16warp_load_methodE1EfEvPT3_S4_iS3_,comdat
.Lfunc_end46:
	.size	_Z24warp_load_guarded_kernelILj1024ELj4ELj1ELN7rocprim17ROCPRIM_304000_NS16warp_load_methodE1EfEvPT3_S4_iS3_, .Lfunc_end46-_Z24warp_load_guarded_kernelILj1024ELj4ELj1ELN7rocprim17ROCPRIM_304000_NS16warp_load_methodE1EfEvPT3_S4_iS3_
                                        ; -- End function
	.section	.AMDGPU.csdata,"",@progbits
; Kernel info:
; codeLenInByte = 220
; NumSgprs: 14
; NumVgprs: 8
; NumAgprs: 0
; TotalNumVgprs: 8
; ScratchSize: 0
; MemoryBound: 0
; FloatMode: 240
; IeeeMode: 1
; LDSByteSize: 0 bytes/workgroup (compile time only)
; SGPRBlocks: 1
; VGPRBlocks: 0
; NumSGPRsForWavesPerEU: 14
; NumVGPRsForWavesPerEU: 8
; AccumOffset: 8
; Occupancy: 8
; WaveLimiterHint : 0
; COMPUTE_PGM_RSRC2:SCRATCH_EN: 0
; COMPUTE_PGM_RSRC2:USER_SGPR: 6
; COMPUTE_PGM_RSRC2:TRAP_HANDLER: 0
; COMPUTE_PGM_RSRC2:TGID_X_EN: 1
; COMPUTE_PGM_RSRC2:TGID_Y_EN: 0
; COMPUTE_PGM_RSRC2:TGID_Z_EN: 0
; COMPUTE_PGM_RSRC2:TIDIG_COMP_CNT: 0
; COMPUTE_PGM_RSRC3_GFX90A:ACCUM_OFFSET: 1
; COMPUTE_PGM_RSRC3_GFX90A:TG_SPLIT: 0
	.section	.text._Z24warp_load_guarded_kernelILj1024ELj4ELj1ELN7rocprim17ROCPRIM_304000_NS16warp_load_methodE0EfEvPT3_S4_iS3_,"axG",@progbits,_Z24warp_load_guarded_kernelILj1024ELj4ELj1ELN7rocprim17ROCPRIM_304000_NS16warp_load_methodE0EfEvPT3_S4_iS3_,comdat
	.protected	_Z24warp_load_guarded_kernelILj1024ELj4ELj1ELN7rocprim17ROCPRIM_304000_NS16warp_load_methodE0EfEvPT3_S4_iS3_ ; -- Begin function _Z24warp_load_guarded_kernelILj1024ELj4ELj1ELN7rocprim17ROCPRIM_304000_NS16warp_load_methodE0EfEvPT3_S4_iS3_
	.globl	_Z24warp_load_guarded_kernelILj1024ELj4ELj1ELN7rocprim17ROCPRIM_304000_NS16warp_load_methodE0EfEvPT3_S4_iS3_
	.p2align	8
	.type	_Z24warp_load_guarded_kernelILj1024ELj4ELj1ELN7rocprim17ROCPRIM_304000_NS16warp_load_methodE0EfEvPT3_S4_iS3_,@function
_Z24warp_load_guarded_kernelILj1024ELj4ELj1ELN7rocprim17ROCPRIM_304000_NS16warp_load_methodE0EfEvPT3_S4_iS3_: ; @_Z24warp_load_guarded_kernelILj1024ELj4ELj1ELN7rocprim17ROCPRIM_304000_NS16warp_load_methodE0EfEvPT3_S4_iS3_
; %bb.0:
	s_load_dwordx4 s[0:3], s[4:5], 0x0
	s_load_dwordx2 s[8:9], s[4:5], 0x10
	v_lshlrev_b32_e32 v1, 4, v0
	s_waitcnt lgkmcnt(0)
	v_mov_b32_e32 v2, s1
	v_add_co_u32_e32 v6, vcc, s0, v1
	v_addc_co_u32_e32 v7, vcc, 0, v2, vcc
	s_mov_b32 s4, s9
	s_mov_b32 s5, s9
	;; [unrolled: 1-line block ×3, first 2 shown]
	s_cmp_eq_u32 s8, 0
	s_mov_b32 s7, s9
	s_cbranch_scc1 .LBB47_8
; %bb.1:
	global_load_dword v1, v[6:7], off
	v_pk_mov_b32 v[2:3], s[4:5], s[4:5] op_sel:[0,1]
	v_pk_mov_b32 v[4:5], s[6:7], s[6:7] op_sel:[0,1]
	s_waitcnt vmcnt(0)
	v_mov_b32_e32 v2, v1
	s_cmp_lt_u32 s8, 2
	s_cbranch_scc1 .LBB47_3
.LBB47_2:
	global_load_dword v3, v[6:7], off offset:4
.LBB47_3:
	s_cmp_lt_u32 s8, 3
	v_lshlrev_b32_e32 v0, 2, v0
	s_cbranch_scc0 .LBB47_6
; %bb.4:
	s_cmp_lt_u32 s8, 4
	s_cbranch_scc0 .LBB47_7
.LBB47_5:
	v_lshlrev_b32_e32 v0, 2, v0
	s_waitcnt vmcnt(0)
	global_store_dwordx4 v0, v[2:5], s[2:3]
	s_endpgm
.LBB47_6:
	global_load_dword v4, v[6:7], off offset:8
	s_cmp_lt_u32 s8, 4
	s_cbranch_scc1 .LBB47_5
.LBB47_7:
	global_load_dword v5, v[6:7], off offset:12
	v_lshlrev_b32_e32 v0, 2, v0
	s_waitcnt vmcnt(0)
	global_store_dwordx4 v0, v[2:5], s[2:3]
	s_endpgm
.LBB47_8:
	v_pk_mov_b32 v[2:3], s[4:5], s[4:5] op_sel:[0,1]
	v_pk_mov_b32 v[4:5], s[6:7], s[6:7] op_sel:[0,1]
	s_cmp_lt_u32 s8, 2
	s_cbranch_scc0 .LBB47_2
	s_branch .LBB47_3
	.section	.rodata,"a",@progbits
	.p2align	6, 0x0
	.amdhsa_kernel _Z24warp_load_guarded_kernelILj1024ELj4ELj1ELN7rocprim17ROCPRIM_304000_NS16warp_load_methodE0EfEvPT3_S4_iS3_
		.amdhsa_group_segment_fixed_size 0
		.amdhsa_private_segment_fixed_size 0
		.amdhsa_kernarg_size 24
		.amdhsa_user_sgpr_count 6
		.amdhsa_user_sgpr_private_segment_buffer 1
		.amdhsa_user_sgpr_dispatch_ptr 0
		.amdhsa_user_sgpr_queue_ptr 0
		.amdhsa_user_sgpr_kernarg_segment_ptr 1
		.amdhsa_user_sgpr_dispatch_id 0
		.amdhsa_user_sgpr_flat_scratch_init 0
		.amdhsa_user_sgpr_kernarg_preload_length 0
		.amdhsa_user_sgpr_kernarg_preload_offset 0
		.amdhsa_user_sgpr_private_segment_size 0
		.amdhsa_uses_dynamic_stack 0
		.amdhsa_system_sgpr_private_segment_wavefront_offset 0
		.amdhsa_system_sgpr_workgroup_id_x 1
		.amdhsa_system_sgpr_workgroup_id_y 0
		.amdhsa_system_sgpr_workgroup_id_z 0
		.amdhsa_system_sgpr_workgroup_info 0
		.amdhsa_system_vgpr_workitem_id 0
		.amdhsa_next_free_vgpr 8
		.amdhsa_next_free_sgpr 10
		.amdhsa_accum_offset 8
		.amdhsa_reserve_vcc 1
		.amdhsa_reserve_flat_scratch 0
		.amdhsa_float_round_mode_32 0
		.amdhsa_float_round_mode_16_64 0
		.amdhsa_float_denorm_mode_32 3
		.amdhsa_float_denorm_mode_16_64 3
		.amdhsa_dx10_clamp 1
		.amdhsa_ieee_mode 1
		.amdhsa_fp16_overflow 0
		.amdhsa_tg_split 0
		.amdhsa_exception_fp_ieee_invalid_op 0
		.amdhsa_exception_fp_denorm_src 0
		.amdhsa_exception_fp_ieee_div_zero 0
		.amdhsa_exception_fp_ieee_overflow 0
		.amdhsa_exception_fp_ieee_underflow 0
		.amdhsa_exception_fp_ieee_inexact 0
		.amdhsa_exception_int_div_zero 0
	.end_amdhsa_kernel
	.section	.text._Z24warp_load_guarded_kernelILj1024ELj4ELj1ELN7rocprim17ROCPRIM_304000_NS16warp_load_methodE0EfEvPT3_S4_iS3_,"axG",@progbits,_Z24warp_load_guarded_kernelILj1024ELj4ELj1ELN7rocprim17ROCPRIM_304000_NS16warp_load_methodE0EfEvPT3_S4_iS3_,comdat
.Lfunc_end47:
	.size	_Z24warp_load_guarded_kernelILj1024ELj4ELj1ELN7rocprim17ROCPRIM_304000_NS16warp_load_methodE0EfEvPT3_S4_iS3_, .Lfunc_end47-_Z24warp_load_guarded_kernelILj1024ELj4ELj1ELN7rocprim17ROCPRIM_304000_NS16warp_load_methodE0EfEvPT3_S4_iS3_
                                        ; -- End function
	.section	.AMDGPU.csdata,"",@progbits
; Kernel info:
; codeLenInByte = 220
; NumSgprs: 14
; NumVgprs: 8
; NumAgprs: 0
; TotalNumVgprs: 8
; ScratchSize: 0
; MemoryBound: 0
; FloatMode: 240
; IeeeMode: 1
; LDSByteSize: 0 bytes/workgroup (compile time only)
; SGPRBlocks: 1
; VGPRBlocks: 0
; NumSGPRsForWavesPerEU: 14
; NumVGPRsForWavesPerEU: 8
; AccumOffset: 8
; Occupancy: 8
; WaveLimiterHint : 0
; COMPUTE_PGM_RSRC2:SCRATCH_EN: 0
; COMPUTE_PGM_RSRC2:USER_SGPR: 6
; COMPUTE_PGM_RSRC2:TRAP_HANDLER: 0
; COMPUTE_PGM_RSRC2:TGID_X_EN: 1
; COMPUTE_PGM_RSRC2:TGID_Y_EN: 0
; COMPUTE_PGM_RSRC2:TGID_Z_EN: 0
; COMPUTE_PGM_RSRC2:TIDIG_COMP_CNT: 0
; COMPUTE_PGM_RSRC3_GFX90A:ACCUM_OFFSET: 1
; COMPUTE_PGM_RSRC3_GFX90A:TG_SPLIT: 0
	.section	.text._Z24warp_load_guarded_kernelILj1024ELj4ELj1ELN7rocprim17ROCPRIM_304000_NS16warp_load_methodE3EhEvPT3_S4_iS3_,"axG",@progbits,_Z24warp_load_guarded_kernelILj1024ELj4ELj1ELN7rocprim17ROCPRIM_304000_NS16warp_load_methodE3EhEvPT3_S4_iS3_,comdat
	.protected	_Z24warp_load_guarded_kernelILj1024ELj4ELj1ELN7rocprim17ROCPRIM_304000_NS16warp_load_methodE3EhEvPT3_S4_iS3_ ; -- Begin function _Z24warp_load_guarded_kernelILj1024ELj4ELj1ELN7rocprim17ROCPRIM_304000_NS16warp_load_methodE3EhEvPT3_S4_iS3_
	.globl	_Z24warp_load_guarded_kernelILj1024ELj4ELj1ELN7rocprim17ROCPRIM_304000_NS16warp_load_methodE3EhEvPT3_S4_iS3_
	.p2align	8
	.type	_Z24warp_load_guarded_kernelILj1024ELj4ELj1ELN7rocprim17ROCPRIM_304000_NS16warp_load_methodE3EhEvPT3_S4_iS3_,@function
_Z24warp_load_guarded_kernelILj1024ELj4ELj1ELN7rocprim17ROCPRIM_304000_NS16warp_load_methodE3EhEvPT3_S4_iS3_: ; @_Z24warp_load_guarded_kernelILj1024ELj4ELj1ELN7rocprim17ROCPRIM_304000_NS16warp_load_methodE3EhEvPT3_S4_iS3_
; %bb.0:
	s_load_dwordx4 s[0:3], s[4:5], 0x0
	s_load_dwordx2 s[6:7], s[4:5], 0x10
	v_lshlrev_b32_e32 v0, 2, v0
	s_waitcnt lgkmcnt(0)
	v_mov_b32_e32 v1, s1
	v_add_co_u32_e32 v2, vcc, s0, v0
	v_addc_co_u32_e32 v3, vcc, 0, v1, vcc
	v_lshlrev_b16_e64 v1, 8, s7
	v_or_b32_sdwa v1, s7, v1 dst_sel:DWORD dst_unused:UNUSED_PAD src0_sel:BYTE_0 src1_sel:DWORD
	v_lshlrev_b32_e32 v4, 16, v1
	s_cmp_eq_u32 s6, 0
	v_or_b32_sdwa v1, v1, v4 dst_sel:DWORD dst_unused:UNUSED_PAD src0_sel:WORD_0 src1_sel:DWORD
	s_cbranch_scc1 .LBB48_8
; %bb.1:
	global_load_ubyte v4, v[2:3], off
	s_mov_b32 s0, 0x3020104
	s_waitcnt vmcnt(0)
	v_perm_b32 v1, v4, v1, s0
	s_cmp_lt_u32 s6, 2
	s_cbranch_scc1 .LBB48_3
.LBB48_2:
	global_load_ubyte v5, v[2:3], off offset:1
	s_mov_b32 s0, 0x7060004
	s_waitcnt vmcnt(0)
	v_perm_b32 v1, v1, v5, s0
.LBB48_3:
	s_cmp_lt_u32 s6, 3
	s_cbranch_scc0 .LBB48_7
; %bb.4:
	s_cmp_lt_u32 s6, 4
	s_cbranch_scc1 .LBB48_6
.LBB48_5:
	global_load_ubyte v2, v[2:3], off offset:3
	s_mov_b32 s0, 0x60504
	s_waitcnt vmcnt(0)
	v_perm_b32 v1, v1, v2, s0
.LBB48_6:
	s_mov_b32 s0, 0x3020104
	v_perm_b32 v1, v4, v1, s0
	ds_write_b32 v0, v1
	; wave barrier
	ds_read_b32 v2, v0
	v_mov_b32_e32 v1, s3
	v_add_co_u32_e32 v0, vcc, s2, v0
	v_addc_co_u32_e32 v1, vcc, 0, v1, vcc
	s_waitcnt lgkmcnt(0)
	global_store_dword v[0:1], v2, off
	s_endpgm
.LBB48_7:
	global_load_ubyte v5, v[2:3], off offset:2
	s_mov_b32 s0, 0x7000504
	s_waitcnt vmcnt(0)
	v_perm_b32 v1, v1, v5, s0
	s_cmp_lt_u32 s6, 4
	s_cbranch_scc0 .LBB48_5
	s_branch .LBB48_6
.LBB48_8:
	v_mov_b32_e32 v4, s7
	s_cmp_lt_u32 s6, 2
	s_cbranch_scc0 .LBB48_2
	s_branch .LBB48_3
	.section	.rodata,"a",@progbits
	.p2align	6, 0x0
	.amdhsa_kernel _Z24warp_load_guarded_kernelILj1024ELj4ELj1ELN7rocprim17ROCPRIM_304000_NS16warp_load_methodE3EhEvPT3_S4_iS3_
		.amdhsa_group_segment_fixed_size 4096
		.amdhsa_private_segment_fixed_size 0
		.amdhsa_kernarg_size 24
		.amdhsa_user_sgpr_count 6
		.amdhsa_user_sgpr_private_segment_buffer 1
		.amdhsa_user_sgpr_dispatch_ptr 0
		.amdhsa_user_sgpr_queue_ptr 0
		.amdhsa_user_sgpr_kernarg_segment_ptr 1
		.amdhsa_user_sgpr_dispatch_id 0
		.amdhsa_user_sgpr_flat_scratch_init 0
		.amdhsa_user_sgpr_kernarg_preload_length 0
		.amdhsa_user_sgpr_kernarg_preload_offset 0
		.amdhsa_user_sgpr_private_segment_size 0
		.amdhsa_uses_dynamic_stack 0
		.amdhsa_system_sgpr_private_segment_wavefront_offset 0
		.amdhsa_system_sgpr_workgroup_id_x 1
		.amdhsa_system_sgpr_workgroup_id_y 0
		.amdhsa_system_sgpr_workgroup_id_z 0
		.amdhsa_system_sgpr_workgroup_info 0
		.amdhsa_system_vgpr_workitem_id 0
		.amdhsa_next_free_vgpr 6
		.amdhsa_next_free_sgpr 8
		.amdhsa_accum_offset 8
		.amdhsa_reserve_vcc 1
		.amdhsa_reserve_flat_scratch 0
		.amdhsa_float_round_mode_32 0
		.amdhsa_float_round_mode_16_64 0
		.amdhsa_float_denorm_mode_32 3
		.amdhsa_float_denorm_mode_16_64 3
		.amdhsa_dx10_clamp 1
		.amdhsa_ieee_mode 1
		.amdhsa_fp16_overflow 0
		.amdhsa_tg_split 0
		.amdhsa_exception_fp_ieee_invalid_op 0
		.amdhsa_exception_fp_denorm_src 0
		.amdhsa_exception_fp_ieee_div_zero 0
		.amdhsa_exception_fp_ieee_overflow 0
		.amdhsa_exception_fp_ieee_underflow 0
		.amdhsa_exception_fp_ieee_inexact 0
		.amdhsa_exception_int_div_zero 0
	.end_amdhsa_kernel
	.section	.text._Z24warp_load_guarded_kernelILj1024ELj4ELj1ELN7rocprim17ROCPRIM_304000_NS16warp_load_methodE3EhEvPT3_S4_iS3_,"axG",@progbits,_Z24warp_load_guarded_kernelILj1024ELj4ELj1ELN7rocprim17ROCPRIM_304000_NS16warp_load_methodE3EhEvPT3_S4_iS3_,comdat
.Lfunc_end48:
	.size	_Z24warp_load_guarded_kernelILj1024ELj4ELj1ELN7rocprim17ROCPRIM_304000_NS16warp_load_methodE3EhEvPT3_S4_iS3_, .Lfunc_end48-_Z24warp_load_guarded_kernelILj1024ELj4ELj1ELN7rocprim17ROCPRIM_304000_NS16warp_load_methodE3EhEvPT3_S4_iS3_
                                        ; -- End function
	.section	.AMDGPU.csdata,"",@progbits
; Kernel info:
; codeLenInByte = 296
; NumSgprs: 12
; NumVgprs: 6
; NumAgprs: 0
; TotalNumVgprs: 6
; ScratchSize: 0
; MemoryBound: 0
; FloatMode: 240
; IeeeMode: 1
; LDSByteSize: 4096 bytes/workgroup (compile time only)
; SGPRBlocks: 1
; VGPRBlocks: 0
; NumSGPRsForWavesPerEU: 12
; NumVGPRsForWavesPerEU: 6
; AccumOffset: 8
; Occupancy: 8
; WaveLimiterHint : 0
; COMPUTE_PGM_RSRC2:SCRATCH_EN: 0
; COMPUTE_PGM_RSRC2:USER_SGPR: 6
; COMPUTE_PGM_RSRC2:TRAP_HANDLER: 0
; COMPUTE_PGM_RSRC2:TGID_X_EN: 1
; COMPUTE_PGM_RSRC2:TGID_Y_EN: 0
; COMPUTE_PGM_RSRC2:TGID_Z_EN: 0
; COMPUTE_PGM_RSRC2:TIDIG_COMP_CNT: 0
; COMPUTE_PGM_RSRC3_GFX90A:ACCUM_OFFSET: 1
; COMPUTE_PGM_RSRC3_GFX90A:TG_SPLIT: 0
	.section	.text._Z24warp_load_guarded_kernelILj1024ELj4ELj1ELN7rocprim17ROCPRIM_304000_NS16warp_load_methodE2EhEvPT3_S4_iS3_,"axG",@progbits,_Z24warp_load_guarded_kernelILj1024ELj4ELj1ELN7rocprim17ROCPRIM_304000_NS16warp_load_methodE2EhEvPT3_S4_iS3_,comdat
	.protected	_Z24warp_load_guarded_kernelILj1024ELj4ELj1ELN7rocprim17ROCPRIM_304000_NS16warp_load_methodE2EhEvPT3_S4_iS3_ ; -- Begin function _Z24warp_load_guarded_kernelILj1024ELj4ELj1ELN7rocprim17ROCPRIM_304000_NS16warp_load_methodE2EhEvPT3_S4_iS3_
	.globl	_Z24warp_load_guarded_kernelILj1024ELj4ELj1ELN7rocprim17ROCPRIM_304000_NS16warp_load_methodE2EhEvPT3_S4_iS3_
	.p2align	8
	.type	_Z24warp_load_guarded_kernelILj1024ELj4ELj1ELN7rocprim17ROCPRIM_304000_NS16warp_load_methodE2EhEvPT3_S4_iS3_,@function
_Z24warp_load_guarded_kernelILj1024ELj4ELj1ELN7rocprim17ROCPRIM_304000_NS16warp_load_methodE2EhEvPT3_S4_iS3_: ; @_Z24warp_load_guarded_kernelILj1024ELj4ELj1ELN7rocprim17ROCPRIM_304000_NS16warp_load_methodE2EhEvPT3_S4_iS3_
; %bb.0:
	s_load_dwordx4 s[0:3], s[4:5], 0x0
	s_load_dwordx2 s[6:7], s[4:5], 0x10
	v_lshlrev_b32_e32 v0, 2, v0
	s_waitcnt lgkmcnt(0)
	v_mov_b32_e32 v1, s1
	v_add_co_u32_e32 v2, vcc, s0, v0
	v_addc_co_u32_e32 v3, vcc, 0, v1, vcc
	v_lshlrev_b16_e64 v1, 8, s7
	v_or_b32_sdwa v1, s7, v1 dst_sel:DWORD dst_unused:UNUSED_PAD src0_sel:BYTE_0 src1_sel:DWORD
	v_lshlrev_b32_e32 v4, 16, v1
	s_cmp_eq_u32 s6, 0
	v_or_b32_sdwa v1, v1, v4 dst_sel:DWORD dst_unused:UNUSED_PAD src0_sel:WORD_0 src1_sel:DWORD
	s_cbranch_scc1 .LBB49_2
; %bb.1:
	global_load_ubyte v4, v[2:3], off
	s_mov_b32 s0, 0x3020104
	s_waitcnt vmcnt(0)
	v_perm_b32 v1, v4, v1, s0
.LBB49_2:
	s_cmp_lt_u32 s6, 2
	s_cbranch_scc0 .LBB49_7
; %bb.3:
	s_cmp_lt_u32 s6, 3
	s_cbranch_scc0 .LBB49_8
.LBB49_4:
	s_cmp_lt_u32 s6, 4
	s_cbranch_scc1 .LBB49_6
.LBB49_5:
	global_load_ubyte v2, v[2:3], off offset:3
	s_mov_b32 s0, 0x60504
	s_waitcnt vmcnt(0)
	v_perm_b32 v1, v1, v2, s0
.LBB49_6:
	v_mov_b32_e32 v3, s3
	v_add_co_u32_e32 v2, vcc, s2, v0
	v_addc_co_u32_e32 v3, vcc, 0, v3, vcc
	global_store_dword v[2:3], v1, off
	s_endpgm
.LBB49_7:
	global_load_ubyte v4, v[2:3], off offset:1
	s_mov_b32 s0, 0x7060004
	s_waitcnt vmcnt(0)
	v_perm_b32 v1, v1, v4, s0
	s_cmp_lt_u32 s6, 3
	s_cbranch_scc1 .LBB49_4
.LBB49_8:
	global_load_ubyte v4, v[2:3], off offset:2
	s_mov_b32 s0, 0x7000504
	s_waitcnt vmcnt(0)
	v_perm_b32 v1, v1, v4, s0
	s_cmp_lt_u32 s6, 4
	s_cbranch_scc0 .LBB49_5
	s_branch .LBB49_6
	.section	.rodata,"a",@progbits
	.p2align	6, 0x0
	.amdhsa_kernel _Z24warp_load_guarded_kernelILj1024ELj4ELj1ELN7rocprim17ROCPRIM_304000_NS16warp_load_methodE2EhEvPT3_S4_iS3_
		.amdhsa_group_segment_fixed_size 0
		.amdhsa_private_segment_fixed_size 0
		.amdhsa_kernarg_size 24
		.amdhsa_user_sgpr_count 6
		.amdhsa_user_sgpr_private_segment_buffer 1
		.amdhsa_user_sgpr_dispatch_ptr 0
		.amdhsa_user_sgpr_queue_ptr 0
		.amdhsa_user_sgpr_kernarg_segment_ptr 1
		.amdhsa_user_sgpr_dispatch_id 0
		.amdhsa_user_sgpr_flat_scratch_init 0
		.amdhsa_user_sgpr_kernarg_preload_length 0
		.amdhsa_user_sgpr_kernarg_preload_offset 0
		.amdhsa_user_sgpr_private_segment_size 0
		.amdhsa_uses_dynamic_stack 0
		.amdhsa_system_sgpr_private_segment_wavefront_offset 0
		.amdhsa_system_sgpr_workgroup_id_x 1
		.amdhsa_system_sgpr_workgroup_id_y 0
		.amdhsa_system_sgpr_workgroup_id_z 0
		.amdhsa_system_sgpr_workgroup_info 0
		.amdhsa_system_vgpr_workitem_id 0
		.amdhsa_next_free_vgpr 5
		.amdhsa_next_free_sgpr 8
		.amdhsa_accum_offset 8
		.amdhsa_reserve_vcc 1
		.amdhsa_reserve_flat_scratch 0
		.amdhsa_float_round_mode_32 0
		.amdhsa_float_round_mode_16_64 0
		.amdhsa_float_denorm_mode_32 3
		.amdhsa_float_denorm_mode_16_64 3
		.amdhsa_dx10_clamp 1
		.amdhsa_ieee_mode 1
		.amdhsa_fp16_overflow 0
		.amdhsa_tg_split 0
		.amdhsa_exception_fp_ieee_invalid_op 0
		.amdhsa_exception_fp_denorm_src 0
		.amdhsa_exception_fp_ieee_div_zero 0
		.amdhsa_exception_fp_ieee_overflow 0
		.amdhsa_exception_fp_ieee_underflow 0
		.amdhsa_exception_fp_ieee_inexact 0
		.amdhsa_exception_int_div_zero 0
	.end_amdhsa_kernel
	.section	.text._Z24warp_load_guarded_kernelILj1024ELj4ELj1ELN7rocprim17ROCPRIM_304000_NS16warp_load_methodE2EhEvPT3_S4_iS3_,"axG",@progbits,_Z24warp_load_guarded_kernelILj1024ELj4ELj1ELN7rocprim17ROCPRIM_304000_NS16warp_load_methodE2EhEvPT3_S4_iS3_,comdat
.Lfunc_end49:
	.size	_Z24warp_load_guarded_kernelILj1024ELj4ELj1ELN7rocprim17ROCPRIM_304000_NS16warp_load_methodE2EhEvPT3_S4_iS3_, .Lfunc_end49-_Z24warp_load_guarded_kernelILj1024ELj4ELj1ELN7rocprim17ROCPRIM_304000_NS16warp_load_methodE2EhEvPT3_S4_iS3_
                                        ; -- End function
	.section	.AMDGPU.csdata,"",@progbits
; Kernel info:
; codeLenInByte = 252
; NumSgprs: 12
; NumVgprs: 5
; NumAgprs: 0
; TotalNumVgprs: 5
; ScratchSize: 0
; MemoryBound: 0
; FloatMode: 240
; IeeeMode: 1
; LDSByteSize: 0 bytes/workgroup (compile time only)
; SGPRBlocks: 1
; VGPRBlocks: 0
; NumSGPRsForWavesPerEU: 12
; NumVGPRsForWavesPerEU: 5
; AccumOffset: 8
; Occupancy: 8
; WaveLimiterHint : 0
; COMPUTE_PGM_RSRC2:SCRATCH_EN: 0
; COMPUTE_PGM_RSRC2:USER_SGPR: 6
; COMPUTE_PGM_RSRC2:TRAP_HANDLER: 0
; COMPUTE_PGM_RSRC2:TGID_X_EN: 1
; COMPUTE_PGM_RSRC2:TGID_Y_EN: 0
; COMPUTE_PGM_RSRC2:TGID_Z_EN: 0
; COMPUTE_PGM_RSRC2:TIDIG_COMP_CNT: 0
; COMPUTE_PGM_RSRC3_GFX90A:ACCUM_OFFSET: 1
; COMPUTE_PGM_RSRC3_GFX90A:TG_SPLIT: 0
	.section	.text._Z24warp_load_guarded_kernelILj1024ELj4ELj1ELN7rocprim17ROCPRIM_304000_NS16warp_load_methodE1EhEvPT3_S4_iS3_,"axG",@progbits,_Z24warp_load_guarded_kernelILj1024ELj4ELj1ELN7rocprim17ROCPRIM_304000_NS16warp_load_methodE1EhEvPT3_S4_iS3_,comdat
	.protected	_Z24warp_load_guarded_kernelILj1024ELj4ELj1ELN7rocprim17ROCPRIM_304000_NS16warp_load_methodE1EhEvPT3_S4_iS3_ ; -- Begin function _Z24warp_load_guarded_kernelILj1024ELj4ELj1ELN7rocprim17ROCPRIM_304000_NS16warp_load_methodE1EhEvPT3_S4_iS3_
	.globl	_Z24warp_load_guarded_kernelILj1024ELj4ELj1ELN7rocprim17ROCPRIM_304000_NS16warp_load_methodE1EhEvPT3_S4_iS3_
	.p2align	8
	.type	_Z24warp_load_guarded_kernelILj1024ELj4ELj1ELN7rocprim17ROCPRIM_304000_NS16warp_load_methodE1EhEvPT3_S4_iS3_,@function
_Z24warp_load_guarded_kernelILj1024ELj4ELj1ELN7rocprim17ROCPRIM_304000_NS16warp_load_methodE1EhEvPT3_S4_iS3_: ; @_Z24warp_load_guarded_kernelILj1024ELj4ELj1ELN7rocprim17ROCPRIM_304000_NS16warp_load_methodE1EhEvPT3_S4_iS3_
; %bb.0:
	s_load_dwordx4 s[0:3], s[4:5], 0x0
	s_load_dwordx2 s[6:7], s[4:5], 0x10
	v_lshlrev_b32_e32 v0, 2, v0
	s_waitcnt lgkmcnt(0)
	v_mov_b32_e32 v1, s1
	v_add_co_u32_e32 v2, vcc, s0, v0
	v_addc_co_u32_e32 v3, vcc, 0, v1, vcc
	v_lshlrev_b16_e64 v1, 8, s7
	v_or_b32_sdwa v1, s7, v1 dst_sel:DWORD dst_unused:UNUSED_PAD src0_sel:BYTE_0 src1_sel:DWORD
	v_lshlrev_b32_e32 v4, 16, v1
	s_cmp_eq_u32 s6, 0
	v_or_b32_sdwa v1, v1, v4 dst_sel:DWORD dst_unused:UNUSED_PAD src0_sel:WORD_0 src1_sel:DWORD
	s_cbranch_scc1 .LBB50_2
; %bb.1:
	global_load_ubyte v4, v[2:3], off
	s_mov_b32 s0, 0x3020104
	s_waitcnt vmcnt(0)
	v_perm_b32 v1, v4, v1, s0
.LBB50_2:
	s_cmp_lt_u32 s6, 2
	s_cbranch_scc0 .LBB50_7
; %bb.3:
	s_cmp_lt_u32 s6, 3
	s_cbranch_scc0 .LBB50_8
.LBB50_4:
	s_cmp_lt_u32 s6, 4
	s_cbranch_scc1 .LBB50_6
.LBB50_5:
	global_load_ubyte v2, v[2:3], off offset:3
	s_mov_b32 s0, 0x60504
	s_waitcnt vmcnt(0)
	v_perm_b32 v1, v1, v2, s0
.LBB50_6:
	v_mov_b32_e32 v3, s3
	v_add_co_u32_e32 v2, vcc, s2, v0
	v_addc_co_u32_e32 v3, vcc, 0, v3, vcc
	global_store_dword v[2:3], v1, off
	s_endpgm
.LBB50_7:
	global_load_ubyte v4, v[2:3], off offset:1
	s_mov_b32 s0, 0x7060004
	s_waitcnt vmcnt(0)
	v_perm_b32 v1, v1, v4, s0
	s_cmp_lt_u32 s6, 3
	s_cbranch_scc1 .LBB50_4
.LBB50_8:
	global_load_ubyte v4, v[2:3], off offset:2
	s_mov_b32 s0, 0x7000504
	s_waitcnt vmcnt(0)
	v_perm_b32 v1, v1, v4, s0
	s_cmp_lt_u32 s6, 4
	s_cbranch_scc0 .LBB50_5
	s_branch .LBB50_6
	.section	.rodata,"a",@progbits
	.p2align	6, 0x0
	.amdhsa_kernel _Z24warp_load_guarded_kernelILj1024ELj4ELj1ELN7rocprim17ROCPRIM_304000_NS16warp_load_methodE1EhEvPT3_S4_iS3_
		.amdhsa_group_segment_fixed_size 0
		.amdhsa_private_segment_fixed_size 0
		.amdhsa_kernarg_size 24
		.amdhsa_user_sgpr_count 6
		.amdhsa_user_sgpr_private_segment_buffer 1
		.amdhsa_user_sgpr_dispatch_ptr 0
		.amdhsa_user_sgpr_queue_ptr 0
		.amdhsa_user_sgpr_kernarg_segment_ptr 1
		.amdhsa_user_sgpr_dispatch_id 0
		.amdhsa_user_sgpr_flat_scratch_init 0
		.amdhsa_user_sgpr_kernarg_preload_length 0
		.amdhsa_user_sgpr_kernarg_preload_offset 0
		.amdhsa_user_sgpr_private_segment_size 0
		.amdhsa_uses_dynamic_stack 0
		.amdhsa_system_sgpr_private_segment_wavefront_offset 0
		.amdhsa_system_sgpr_workgroup_id_x 1
		.amdhsa_system_sgpr_workgroup_id_y 0
		.amdhsa_system_sgpr_workgroup_id_z 0
		.amdhsa_system_sgpr_workgroup_info 0
		.amdhsa_system_vgpr_workitem_id 0
		.amdhsa_next_free_vgpr 5
		.amdhsa_next_free_sgpr 8
		.amdhsa_accum_offset 8
		.amdhsa_reserve_vcc 1
		.amdhsa_reserve_flat_scratch 0
		.amdhsa_float_round_mode_32 0
		.amdhsa_float_round_mode_16_64 0
		.amdhsa_float_denorm_mode_32 3
		.amdhsa_float_denorm_mode_16_64 3
		.amdhsa_dx10_clamp 1
		.amdhsa_ieee_mode 1
		.amdhsa_fp16_overflow 0
		.amdhsa_tg_split 0
		.amdhsa_exception_fp_ieee_invalid_op 0
		.amdhsa_exception_fp_denorm_src 0
		.amdhsa_exception_fp_ieee_div_zero 0
		.amdhsa_exception_fp_ieee_overflow 0
		.amdhsa_exception_fp_ieee_underflow 0
		.amdhsa_exception_fp_ieee_inexact 0
		.amdhsa_exception_int_div_zero 0
	.end_amdhsa_kernel
	.section	.text._Z24warp_load_guarded_kernelILj1024ELj4ELj1ELN7rocprim17ROCPRIM_304000_NS16warp_load_methodE1EhEvPT3_S4_iS3_,"axG",@progbits,_Z24warp_load_guarded_kernelILj1024ELj4ELj1ELN7rocprim17ROCPRIM_304000_NS16warp_load_methodE1EhEvPT3_S4_iS3_,comdat
.Lfunc_end50:
	.size	_Z24warp_load_guarded_kernelILj1024ELj4ELj1ELN7rocprim17ROCPRIM_304000_NS16warp_load_methodE1EhEvPT3_S4_iS3_, .Lfunc_end50-_Z24warp_load_guarded_kernelILj1024ELj4ELj1ELN7rocprim17ROCPRIM_304000_NS16warp_load_methodE1EhEvPT3_S4_iS3_
                                        ; -- End function
	.section	.AMDGPU.csdata,"",@progbits
; Kernel info:
; codeLenInByte = 252
; NumSgprs: 12
; NumVgprs: 5
; NumAgprs: 0
; TotalNumVgprs: 5
; ScratchSize: 0
; MemoryBound: 0
; FloatMode: 240
; IeeeMode: 1
; LDSByteSize: 0 bytes/workgroup (compile time only)
; SGPRBlocks: 1
; VGPRBlocks: 0
; NumSGPRsForWavesPerEU: 12
; NumVGPRsForWavesPerEU: 5
; AccumOffset: 8
; Occupancy: 8
; WaveLimiterHint : 0
; COMPUTE_PGM_RSRC2:SCRATCH_EN: 0
; COMPUTE_PGM_RSRC2:USER_SGPR: 6
; COMPUTE_PGM_RSRC2:TRAP_HANDLER: 0
; COMPUTE_PGM_RSRC2:TGID_X_EN: 1
; COMPUTE_PGM_RSRC2:TGID_Y_EN: 0
; COMPUTE_PGM_RSRC2:TGID_Z_EN: 0
; COMPUTE_PGM_RSRC2:TIDIG_COMP_CNT: 0
; COMPUTE_PGM_RSRC3_GFX90A:ACCUM_OFFSET: 1
; COMPUTE_PGM_RSRC3_GFX90A:TG_SPLIT: 0
	.section	.text._Z24warp_load_guarded_kernelILj1024ELj4ELj1ELN7rocprim17ROCPRIM_304000_NS16warp_load_methodE0EhEvPT3_S4_iS3_,"axG",@progbits,_Z24warp_load_guarded_kernelILj1024ELj4ELj1ELN7rocprim17ROCPRIM_304000_NS16warp_load_methodE0EhEvPT3_S4_iS3_,comdat
	.protected	_Z24warp_load_guarded_kernelILj1024ELj4ELj1ELN7rocprim17ROCPRIM_304000_NS16warp_load_methodE0EhEvPT3_S4_iS3_ ; -- Begin function _Z24warp_load_guarded_kernelILj1024ELj4ELj1ELN7rocprim17ROCPRIM_304000_NS16warp_load_methodE0EhEvPT3_S4_iS3_
	.globl	_Z24warp_load_guarded_kernelILj1024ELj4ELj1ELN7rocprim17ROCPRIM_304000_NS16warp_load_methodE0EhEvPT3_S4_iS3_
	.p2align	8
	.type	_Z24warp_load_guarded_kernelILj1024ELj4ELj1ELN7rocprim17ROCPRIM_304000_NS16warp_load_methodE0EhEvPT3_S4_iS3_,@function
_Z24warp_load_guarded_kernelILj1024ELj4ELj1ELN7rocprim17ROCPRIM_304000_NS16warp_load_methodE0EhEvPT3_S4_iS3_: ; @_Z24warp_load_guarded_kernelILj1024ELj4ELj1ELN7rocprim17ROCPRIM_304000_NS16warp_load_methodE0EhEvPT3_S4_iS3_
; %bb.0:
	s_load_dwordx4 s[0:3], s[4:5], 0x0
	s_load_dwordx2 s[6:7], s[4:5], 0x10
	v_lshlrev_b32_e32 v0, 2, v0
	s_waitcnt lgkmcnt(0)
	v_mov_b32_e32 v1, s1
	v_add_co_u32_e32 v2, vcc, s0, v0
	v_addc_co_u32_e32 v3, vcc, 0, v1, vcc
	v_lshlrev_b16_e64 v1, 8, s7
	v_or_b32_sdwa v1, s7, v1 dst_sel:DWORD dst_unused:UNUSED_PAD src0_sel:BYTE_0 src1_sel:DWORD
	v_lshlrev_b32_e32 v4, 16, v1
	s_cmp_eq_u32 s6, 0
	v_or_b32_sdwa v1, v1, v4 dst_sel:DWORD dst_unused:UNUSED_PAD src0_sel:WORD_0 src1_sel:DWORD
	s_cbranch_scc1 .LBB51_2
; %bb.1:
	global_load_ubyte v4, v[2:3], off
	s_mov_b32 s0, 0x3020104
	s_waitcnt vmcnt(0)
	v_perm_b32 v1, v4, v1, s0
.LBB51_2:
	s_cmp_lt_u32 s6, 2
	s_cbranch_scc0 .LBB51_7
; %bb.3:
	s_cmp_lt_u32 s6, 3
	s_cbranch_scc0 .LBB51_8
.LBB51_4:
	s_cmp_lt_u32 s6, 4
	s_cbranch_scc1 .LBB51_6
.LBB51_5:
	global_load_ubyte v2, v[2:3], off offset:3
	s_mov_b32 s0, 0x60504
	s_waitcnt vmcnt(0)
	v_perm_b32 v1, v1, v2, s0
.LBB51_6:
	v_mov_b32_e32 v3, s3
	v_add_co_u32_e32 v2, vcc, s2, v0
	v_addc_co_u32_e32 v3, vcc, 0, v3, vcc
	global_store_dword v[2:3], v1, off
	s_endpgm
.LBB51_7:
	global_load_ubyte v4, v[2:3], off offset:1
	s_mov_b32 s0, 0x7060004
	s_waitcnt vmcnt(0)
	v_perm_b32 v1, v1, v4, s0
	s_cmp_lt_u32 s6, 3
	s_cbranch_scc1 .LBB51_4
.LBB51_8:
	global_load_ubyte v4, v[2:3], off offset:2
	s_mov_b32 s0, 0x7000504
	s_waitcnt vmcnt(0)
	v_perm_b32 v1, v1, v4, s0
	s_cmp_lt_u32 s6, 4
	s_cbranch_scc0 .LBB51_5
	s_branch .LBB51_6
	.section	.rodata,"a",@progbits
	.p2align	6, 0x0
	.amdhsa_kernel _Z24warp_load_guarded_kernelILj1024ELj4ELj1ELN7rocprim17ROCPRIM_304000_NS16warp_load_methodE0EhEvPT3_S4_iS3_
		.amdhsa_group_segment_fixed_size 0
		.amdhsa_private_segment_fixed_size 0
		.amdhsa_kernarg_size 24
		.amdhsa_user_sgpr_count 6
		.amdhsa_user_sgpr_private_segment_buffer 1
		.amdhsa_user_sgpr_dispatch_ptr 0
		.amdhsa_user_sgpr_queue_ptr 0
		.amdhsa_user_sgpr_kernarg_segment_ptr 1
		.amdhsa_user_sgpr_dispatch_id 0
		.amdhsa_user_sgpr_flat_scratch_init 0
		.amdhsa_user_sgpr_kernarg_preload_length 0
		.amdhsa_user_sgpr_kernarg_preload_offset 0
		.amdhsa_user_sgpr_private_segment_size 0
		.amdhsa_uses_dynamic_stack 0
		.amdhsa_system_sgpr_private_segment_wavefront_offset 0
		.amdhsa_system_sgpr_workgroup_id_x 1
		.amdhsa_system_sgpr_workgroup_id_y 0
		.amdhsa_system_sgpr_workgroup_id_z 0
		.amdhsa_system_sgpr_workgroup_info 0
		.amdhsa_system_vgpr_workitem_id 0
		.amdhsa_next_free_vgpr 5
		.amdhsa_next_free_sgpr 8
		.amdhsa_accum_offset 8
		.amdhsa_reserve_vcc 1
		.amdhsa_reserve_flat_scratch 0
		.amdhsa_float_round_mode_32 0
		.amdhsa_float_round_mode_16_64 0
		.amdhsa_float_denorm_mode_32 3
		.amdhsa_float_denorm_mode_16_64 3
		.amdhsa_dx10_clamp 1
		.amdhsa_ieee_mode 1
		.amdhsa_fp16_overflow 0
		.amdhsa_tg_split 0
		.amdhsa_exception_fp_ieee_invalid_op 0
		.amdhsa_exception_fp_denorm_src 0
		.amdhsa_exception_fp_ieee_div_zero 0
		.amdhsa_exception_fp_ieee_overflow 0
		.amdhsa_exception_fp_ieee_underflow 0
		.amdhsa_exception_fp_ieee_inexact 0
		.amdhsa_exception_int_div_zero 0
	.end_amdhsa_kernel
	.section	.text._Z24warp_load_guarded_kernelILj1024ELj4ELj1ELN7rocprim17ROCPRIM_304000_NS16warp_load_methodE0EhEvPT3_S4_iS3_,"axG",@progbits,_Z24warp_load_guarded_kernelILj1024ELj4ELj1ELN7rocprim17ROCPRIM_304000_NS16warp_load_methodE0EhEvPT3_S4_iS3_,comdat
.Lfunc_end51:
	.size	_Z24warp_load_guarded_kernelILj1024ELj4ELj1ELN7rocprim17ROCPRIM_304000_NS16warp_load_methodE0EhEvPT3_S4_iS3_, .Lfunc_end51-_Z24warp_load_guarded_kernelILj1024ELj4ELj1ELN7rocprim17ROCPRIM_304000_NS16warp_load_methodE0EhEvPT3_S4_iS3_
                                        ; -- End function
	.section	.AMDGPU.csdata,"",@progbits
; Kernel info:
; codeLenInByte = 252
; NumSgprs: 12
; NumVgprs: 5
; NumAgprs: 0
; TotalNumVgprs: 5
; ScratchSize: 0
; MemoryBound: 0
; FloatMode: 240
; IeeeMode: 1
; LDSByteSize: 0 bytes/workgroup (compile time only)
; SGPRBlocks: 1
; VGPRBlocks: 0
; NumSGPRsForWavesPerEU: 12
; NumVGPRsForWavesPerEU: 5
; AccumOffset: 8
; Occupancy: 8
; WaveLimiterHint : 0
; COMPUTE_PGM_RSRC2:SCRATCH_EN: 0
; COMPUTE_PGM_RSRC2:USER_SGPR: 6
; COMPUTE_PGM_RSRC2:TRAP_HANDLER: 0
; COMPUTE_PGM_RSRC2:TGID_X_EN: 1
; COMPUTE_PGM_RSRC2:TGID_Y_EN: 0
; COMPUTE_PGM_RSRC2:TGID_Z_EN: 0
; COMPUTE_PGM_RSRC2:TIDIG_COMP_CNT: 0
; COMPUTE_PGM_RSRC3_GFX90A:ACCUM_OFFSET: 1
; COMPUTE_PGM_RSRC3_GFX90A:TG_SPLIT: 0
	.section	.text._Z24warp_load_guarded_kernelILj1024ELj4ELj1ELN7rocprim17ROCPRIM_304000_NS16warp_load_methodE3EaEvPT3_S4_iS3_,"axG",@progbits,_Z24warp_load_guarded_kernelILj1024ELj4ELj1ELN7rocprim17ROCPRIM_304000_NS16warp_load_methodE3EaEvPT3_S4_iS3_,comdat
	.protected	_Z24warp_load_guarded_kernelILj1024ELj4ELj1ELN7rocprim17ROCPRIM_304000_NS16warp_load_methodE3EaEvPT3_S4_iS3_ ; -- Begin function _Z24warp_load_guarded_kernelILj1024ELj4ELj1ELN7rocprim17ROCPRIM_304000_NS16warp_load_methodE3EaEvPT3_S4_iS3_
	.globl	_Z24warp_load_guarded_kernelILj1024ELj4ELj1ELN7rocprim17ROCPRIM_304000_NS16warp_load_methodE3EaEvPT3_S4_iS3_
	.p2align	8
	.type	_Z24warp_load_guarded_kernelILj1024ELj4ELj1ELN7rocprim17ROCPRIM_304000_NS16warp_load_methodE3EaEvPT3_S4_iS3_,@function
_Z24warp_load_guarded_kernelILj1024ELj4ELj1ELN7rocprim17ROCPRIM_304000_NS16warp_load_methodE3EaEvPT3_S4_iS3_: ; @_Z24warp_load_guarded_kernelILj1024ELj4ELj1ELN7rocprim17ROCPRIM_304000_NS16warp_load_methodE3EaEvPT3_S4_iS3_
; %bb.0:
	s_load_dwordx4 s[0:3], s[4:5], 0x0
	s_load_dwordx2 s[6:7], s[4:5], 0x10
	v_lshlrev_b32_e32 v0, 2, v0
	s_waitcnt lgkmcnt(0)
	v_mov_b32_e32 v1, s1
	v_add_co_u32_e32 v2, vcc, s0, v0
	v_addc_co_u32_e32 v3, vcc, 0, v1, vcc
	v_lshlrev_b16_e64 v1, 8, s7
	v_or_b32_sdwa v1, s7, v1 dst_sel:DWORD dst_unused:UNUSED_PAD src0_sel:BYTE_0 src1_sel:DWORD
	v_lshlrev_b32_e32 v4, 16, v1
	s_cmp_eq_u32 s6, 0
	v_or_b32_sdwa v1, v1, v4 dst_sel:DWORD dst_unused:UNUSED_PAD src0_sel:WORD_0 src1_sel:DWORD
	s_cbranch_scc1 .LBB52_8
; %bb.1:
	global_load_ubyte v4, v[2:3], off
	s_mov_b32 s0, 0x3020104
	s_waitcnt vmcnt(0)
	v_perm_b32 v1, v4, v1, s0
	s_cmp_lt_u32 s6, 2
	s_cbranch_scc1 .LBB52_3
.LBB52_2:
	global_load_ubyte v5, v[2:3], off offset:1
	s_mov_b32 s0, 0x7060004
	s_waitcnt vmcnt(0)
	v_perm_b32 v1, v1, v5, s0
.LBB52_3:
	s_cmp_lt_u32 s6, 3
	s_cbranch_scc0 .LBB52_7
; %bb.4:
	s_cmp_lt_u32 s6, 4
	s_cbranch_scc1 .LBB52_6
.LBB52_5:
	global_load_ubyte v2, v[2:3], off offset:3
	s_mov_b32 s0, 0x60504
	s_waitcnt vmcnt(0)
	v_perm_b32 v1, v1, v2, s0
.LBB52_6:
	s_mov_b32 s0, 0x3020104
	v_perm_b32 v1, v4, v1, s0
	ds_write_b32 v0, v1
	; wave barrier
	ds_read_b32 v2, v0
	v_mov_b32_e32 v1, s3
	v_add_co_u32_e32 v0, vcc, s2, v0
	v_addc_co_u32_e32 v1, vcc, 0, v1, vcc
	s_waitcnt lgkmcnt(0)
	global_store_dword v[0:1], v2, off
	s_endpgm
.LBB52_7:
	global_load_ubyte v5, v[2:3], off offset:2
	s_mov_b32 s0, 0x7000504
	s_waitcnt vmcnt(0)
	v_perm_b32 v1, v1, v5, s0
	s_cmp_lt_u32 s6, 4
	s_cbranch_scc0 .LBB52_5
	s_branch .LBB52_6
.LBB52_8:
	v_mov_b32_e32 v4, s7
	s_cmp_lt_u32 s6, 2
	s_cbranch_scc0 .LBB52_2
	s_branch .LBB52_3
	.section	.rodata,"a",@progbits
	.p2align	6, 0x0
	.amdhsa_kernel _Z24warp_load_guarded_kernelILj1024ELj4ELj1ELN7rocprim17ROCPRIM_304000_NS16warp_load_methodE3EaEvPT3_S4_iS3_
		.amdhsa_group_segment_fixed_size 4096
		.amdhsa_private_segment_fixed_size 0
		.amdhsa_kernarg_size 24
		.amdhsa_user_sgpr_count 6
		.amdhsa_user_sgpr_private_segment_buffer 1
		.amdhsa_user_sgpr_dispatch_ptr 0
		.amdhsa_user_sgpr_queue_ptr 0
		.amdhsa_user_sgpr_kernarg_segment_ptr 1
		.amdhsa_user_sgpr_dispatch_id 0
		.amdhsa_user_sgpr_flat_scratch_init 0
		.amdhsa_user_sgpr_kernarg_preload_length 0
		.amdhsa_user_sgpr_kernarg_preload_offset 0
		.amdhsa_user_sgpr_private_segment_size 0
		.amdhsa_uses_dynamic_stack 0
		.amdhsa_system_sgpr_private_segment_wavefront_offset 0
		.amdhsa_system_sgpr_workgroup_id_x 1
		.amdhsa_system_sgpr_workgroup_id_y 0
		.amdhsa_system_sgpr_workgroup_id_z 0
		.amdhsa_system_sgpr_workgroup_info 0
		.amdhsa_system_vgpr_workitem_id 0
		.amdhsa_next_free_vgpr 6
		.amdhsa_next_free_sgpr 8
		.amdhsa_accum_offset 8
		.amdhsa_reserve_vcc 1
		.amdhsa_reserve_flat_scratch 0
		.amdhsa_float_round_mode_32 0
		.amdhsa_float_round_mode_16_64 0
		.amdhsa_float_denorm_mode_32 3
		.amdhsa_float_denorm_mode_16_64 3
		.amdhsa_dx10_clamp 1
		.amdhsa_ieee_mode 1
		.amdhsa_fp16_overflow 0
		.amdhsa_tg_split 0
		.amdhsa_exception_fp_ieee_invalid_op 0
		.amdhsa_exception_fp_denorm_src 0
		.amdhsa_exception_fp_ieee_div_zero 0
		.amdhsa_exception_fp_ieee_overflow 0
		.amdhsa_exception_fp_ieee_underflow 0
		.amdhsa_exception_fp_ieee_inexact 0
		.amdhsa_exception_int_div_zero 0
	.end_amdhsa_kernel
	.section	.text._Z24warp_load_guarded_kernelILj1024ELj4ELj1ELN7rocprim17ROCPRIM_304000_NS16warp_load_methodE3EaEvPT3_S4_iS3_,"axG",@progbits,_Z24warp_load_guarded_kernelILj1024ELj4ELj1ELN7rocprim17ROCPRIM_304000_NS16warp_load_methodE3EaEvPT3_S4_iS3_,comdat
.Lfunc_end52:
	.size	_Z24warp_load_guarded_kernelILj1024ELj4ELj1ELN7rocprim17ROCPRIM_304000_NS16warp_load_methodE3EaEvPT3_S4_iS3_, .Lfunc_end52-_Z24warp_load_guarded_kernelILj1024ELj4ELj1ELN7rocprim17ROCPRIM_304000_NS16warp_load_methodE3EaEvPT3_S4_iS3_
                                        ; -- End function
	.section	.AMDGPU.csdata,"",@progbits
; Kernel info:
; codeLenInByte = 296
; NumSgprs: 12
; NumVgprs: 6
; NumAgprs: 0
; TotalNumVgprs: 6
; ScratchSize: 0
; MemoryBound: 0
; FloatMode: 240
; IeeeMode: 1
; LDSByteSize: 4096 bytes/workgroup (compile time only)
; SGPRBlocks: 1
; VGPRBlocks: 0
; NumSGPRsForWavesPerEU: 12
; NumVGPRsForWavesPerEU: 6
; AccumOffset: 8
; Occupancy: 8
; WaveLimiterHint : 0
; COMPUTE_PGM_RSRC2:SCRATCH_EN: 0
; COMPUTE_PGM_RSRC2:USER_SGPR: 6
; COMPUTE_PGM_RSRC2:TRAP_HANDLER: 0
; COMPUTE_PGM_RSRC2:TGID_X_EN: 1
; COMPUTE_PGM_RSRC2:TGID_Y_EN: 0
; COMPUTE_PGM_RSRC2:TGID_Z_EN: 0
; COMPUTE_PGM_RSRC2:TIDIG_COMP_CNT: 0
; COMPUTE_PGM_RSRC3_GFX90A:ACCUM_OFFSET: 1
; COMPUTE_PGM_RSRC3_GFX90A:TG_SPLIT: 0
	.section	.text._Z24warp_load_guarded_kernelILj1024ELj4ELj1ELN7rocprim17ROCPRIM_304000_NS16warp_load_methodE2EaEvPT3_S4_iS3_,"axG",@progbits,_Z24warp_load_guarded_kernelILj1024ELj4ELj1ELN7rocprim17ROCPRIM_304000_NS16warp_load_methodE2EaEvPT3_S4_iS3_,comdat
	.protected	_Z24warp_load_guarded_kernelILj1024ELj4ELj1ELN7rocprim17ROCPRIM_304000_NS16warp_load_methodE2EaEvPT3_S4_iS3_ ; -- Begin function _Z24warp_load_guarded_kernelILj1024ELj4ELj1ELN7rocprim17ROCPRIM_304000_NS16warp_load_methodE2EaEvPT3_S4_iS3_
	.globl	_Z24warp_load_guarded_kernelILj1024ELj4ELj1ELN7rocprim17ROCPRIM_304000_NS16warp_load_methodE2EaEvPT3_S4_iS3_
	.p2align	8
	.type	_Z24warp_load_guarded_kernelILj1024ELj4ELj1ELN7rocprim17ROCPRIM_304000_NS16warp_load_methodE2EaEvPT3_S4_iS3_,@function
_Z24warp_load_guarded_kernelILj1024ELj4ELj1ELN7rocprim17ROCPRIM_304000_NS16warp_load_methodE2EaEvPT3_S4_iS3_: ; @_Z24warp_load_guarded_kernelILj1024ELj4ELj1ELN7rocprim17ROCPRIM_304000_NS16warp_load_methodE2EaEvPT3_S4_iS3_
; %bb.0:
	s_load_dwordx4 s[0:3], s[4:5], 0x0
	s_load_dwordx2 s[6:7], s[4:5], 0x10
	v_lshlrev_b32_e32 v0, 2, v0
	s_waitcnt lgkmcnt(0)
	v_mov_b32_e32 v1, s1
	v_add_co_u32_e32 v2, vcc, s0, v0
	v_addc_co_u32_e32 v3, vcc, 0, v1, vcc
	v_lshlrev_b16_e64 v1, 8, s7
	v_or_b32_sdwa v1, s7, v1 dst_sel:DWORD dst_unused:UNUSED_PAD src0_sel:BYTE_0 src1_sel:DWORD
	v_lshlrev_b32_e32 v4, 16, v1
	s_cmp_eq_u32 s6, 0
	v_or_b32_sdwa v1, v1, v4 dst_sel:DWORD dst_unused:UNUSED_PAD src0_sel:WORD_0 src1_sel:DWORD
	s_cbranch_scc1 .LBB53_2
; %bb.1:
	global_load_ubyte v4, v[2:3], off
	s_mov_b32 s0, 0x3020104
	s_waitcnt vmcnt(0)
	v_perm_b32 v1, v4, v1, s0
.LBB53_2:
	s_cmp_lt_u32 s6, 2
	s_cbranch_scc0 .LBB53_7
; %bb.3:
	s_cmp_lt_u32 s6, 3
	s_cbranch_scc0 .LBB53_8
.LBB53_4:
	s_cmp_lt_u32 s6, 4
	s_cbranch_scc1 .LBB53_6
.LBB53_5:
	global_load_ubyte v2, v[2:3], off offset:3
	s_mov_b32 s0, 0x60504
	s_waitcnt vmcnt(0)
	v_perm_b32 v1, v1, v2, s0
.LBB53_6:
	v_mov_b32_e32 v3, s3
	v_add_co_u32_e32 v2, vcc, s2, v0
	v_addc_co_u32_e32 v3, vcc, 0, v3, vcc
	global_store_dword v[2:3], v1, off
	s_endpgm
.LBB53_7:
	global_load_ubyte v4, v[2:3], off offset:1
	s_mov_b32 s0, 0x7060004
	s_waitcnt vmcnt(0)
	v_perm_b32 v1, v1, v4, s0
	s_cmp_lt_u32 s6, 3
	s_cbranch_scc1 .LBB53_4
.LBB53_8:
	global_load_ubyte v4, v[2:3], off offset:2
	s_mov_b32 s0, 0x7000504
	s_waitcnt vmcnt(0)
	v_perm_b32 v1, v1, v4, s0
	s_cmp_lt_u32 s6, 4
	s_cbranch_scc0 .LBB53_5
	s_branch .LBB53_6
	.section	.rodata,"a",@progbits
	.p2align	6, 0x0
	.amdhsa_kernel _Z24warp_load_guarded_kernelILj1024ELj4ELj1ELN7rocprim17ROCPRIM_304000_NS16warp_load_methodE2EaEvPT3_S4_iS3_
		.amdhsa_group_segment_fixed_size 0
		.amdhsa_private_segment_fixed_size 0
		.amdhsa_kernarg_size 24
		.amdhsa_user_sgpr_count 6
		.amdhsa_user_sgpr_private_segment_buffer 1
		.amdhsa_user_sgpr_dispatch_ptr 0
		.amdhsa_user_sgpr_queue_ptr 0
		.amdhsa_user_sgpr_kernarg_segment_ptr 1
		.amdhsa_user_sgpr_dispatch_id 0
		.amdhsa_user_sgpr_flat_scratch_init 0
		.amdhsa_user_sgpr_kernarg_preload_length 0
		.amdhsa_user_sgpr_kernarg_preload_offset 0
		.amdhsa_user_sgpr_private_segment_size 0
		.amdhsa_uses_dynamic_stack 0
		.amdhsa_system_sgpr_private_segment_wavefront_offset 0
		.amdhsa_system_sgpr_workgroup_id_x 1
		.amdhsa_system_sgpr_workgroup_id_y 0
		.amdhsa_system_sgpr_workgroup_id_z 0
		.amdhsa_system_sgpr_workgroup_info 0
		.amdhsa_system_vgpr_workitem_id 0
		.amdhsa_next_free_vgpr 5
		.amdhsa_next_free_sgpr 8
		.amdhsa_accum_offset 8
		.amdhsa_reserve_vcc 1
		.amdhsa_reserve_flat_scratch 0
		.amdhsa_float_round_mode_32 0
		.amdhsa_float_round_mode_16_64 0
		.amdhsa_float_denorm_mode_32 3
		.amdhsa_float_denorm_mode_16_64 3
		.amdhsa_dx10_clamp 1
		.amdhsa_ieee_mode 1
		.amdhsa_fp16_overflow 0
		.amdhsa_tg_split 0
		.amdhsa_exception_fp_ieee_invalid_op 0
		.amdhsa_exception_fp_denorm_src 0
		.amdhsa_exception_fp_ieee_div_zero 0
		.amdhsa_exception_fp_ieee_overflow 0
		.amdhsa_exception_fp_ieee_underflow 0
		.amdhsa_exception_fp_ieee_inexact 0
		.amdhsa_exception_int_div_zero 0
	.end_amdhsa_kernel
	.section	.text._Z24warp_load_guarded_kernelILj1024ELj4ELj1ELN7rocprim17ROCPRIM_304000_NS16warp_load_methodE2EaEvPT3_S4_iS3_,"axG",@progbits,_Z24warp_load_guarded_kernelILj1024ELj4ELj1ELN7rocprim17ROCPRIM_304000_NS16warp_load_methodE2EaEvPT3_S4_iS3_,comdat
.Lfunc_end53:
	.size	_Z24warp_load_guarded_kernelILj1024ELj4ELj1ELN7rocprim17ROCPRIM_304000_NS16warp_load_methodE2EaEvPT3_S4_iS3_, .Lfunc_end53-_Z24warp_load_guarded_kernelILj1024ELj4ELj1ELN7rocprim17ROCPRIM_304000_NS16warp_load_methodE2EaEvPT3_S4_iS3_
                                        ; -- End function
	.section	.AMDGPU.csdata,"",@progbits
; Kernel info:
; codeLenInByte = 252
; NumSgprs: 12
; NumVgprs: 5
; NumAgprs: 0
; TotalNumVgprs: 5
; ScratchSize: 0
; MemoryBound: 0
; FloatMode: 240
; IeeeMode: 1
; LDSByteSize: 0 bytes/workgroup (compile time only)
; SGPRBlocks: 1
; VGPRBlocks: 0
; NumSGPRsForWavesPerEU: 12
; NumVGPRsForWavesPerEU: 5
; AccumOffset: 8
; Occupancy: 8
; WaveLimiterHint : 0
; COMPUTE_PGM_RSRC2:SCRATCH_EN: 0
; COMPUTE_PGM_RSRC2:USER_SGPR: 6
; COMPUTE_PGM_RSRC2:TRAP_HANDLER: 0
; COMPUTE_PGM_RSRC2:TGID_X_EN: 1
; COMPUTE_PGM_RSRC2:TGID_Y_EN: 0
; COMPUTE_PGM_RSRC2:TGID_Z_EN: 0
; COMPUTE_PGM_RSRC2:TIDIG_COMP_CNT: 0
; COMPUTE_PGM_RSRC3_GFX90A:ACCUM_OFFSET: 1
; COMPUTE_PGM_RSRC3_GFX90A:TG_SPLIT: 0
	.section	.text._Z24warp_load_guarded_kernelILj1024ELj4ELj1ELN7rocprim17ROCPRIM_304000_NS16warp_load_methodE1EaEvPT3_S4_iS3_,"axG",@progbits,_Z24warp_load_guarded_kernelILj1024ELj4ELj1ELN7rocprim17ROCPRIM_304000_NS16warp_load_methodE1EaEvPT3_S4_iS3_,comdat
	.protected	_Z24warp_load_guarded_kernelILj1024ELj4ELj1ELN7rocprim17ROCPRIM_304000_NS16warp_load_methodE1EaEvPT3_S4_iS3_ ; -- Begin function _Z24warp_load_guarded_kernelILj1024ELj4ELj1ELN7rocprim17ROCPRIM_304000_NS16warp_load_methodE1EaEvPT3_S4_iS3_
	.globl	_Z24warp_load_guarded_kernelILj1024ELj4ELj1ELN7rocprim17ROCPRIM_304000_NS16warp_load_methodE1EaEvPT3_S4_iS3_
	.p2align	8
	.type	_Z24warp_load_guarded_kernelILj1024ELj4ELj1ELN7rocprim17ROCPRIM_304000_NS16warp_load_methodE1EaEvPT3_S4_iS3_,@function
_Z24warp_load_guarded_kernelILj1024ELj4ELj1ELN7rocprim17ROCPRIM_304000_NS16warp_load_methodE1EaEvPT3_S4_iS3_: ; @_Z24warp_load_guarded_kernelILj1024ELj4ELj1ELN7rocprim17ROCPRIM_304000_NS16warp_load_methodE1EaEvPT3_S4_iS3_
; %bb.0:
	s_load_dwordx4 s[0:3], s[4:5], 0x0
	s_load_dwordx2 s[6:7], s[4:5], 0x10
	v_lshlrev_b32_e32 v0, 2, v0
	s_waitcnt lgkmcnt(0)
	v_mov_b32_e32 v1, s1
	v_add_co_u32_e32 v2, vcc, s0, v0
	v_addc_co_u32_e32 v3, vcc, 0, v1, vcc
	v_lshlrev_b16_e64 v1, 8, s7
	v_or_b32_sdwa v1, s7, v1 dst_sel:DWORD dst_unused:UNUSED_PAD src0_sel:BYTE_0 src1_sel:DWORD
	v_lshlrev_b32_e32 v4, 16, v1
	s_cmp_eq_u32 s6, 0
	v_or_b32_sdwa v1, v1, v4 dst_sel:DWORD dst_unused:UNUSED_PAD src0_sel:WORD_0 src1_sel:DWORD
	s_cbranch_scc1 .LBB54_2
; %bb.1:
	global_load_ubyte v4, v[2:3], off
	s_mov_b32 s0, 0x3020104
	s_waitcnt vmcnt(0)
	v_perm_b32 v1, v4, v1, s0
.LBB54_2:
	s_cmp_lt_u32 s6, 2
	s_cbranch_scc0 .LBB54_7
; %bb.3:
	s_cmp_lt_u32 s6, 3
	s_cbranch_scc0 .LBB54_8
.LBB54_4:
	s_cmp_lt_u32 s6, 4
	s_cbranch_scc1 .LBB54_6
.LBB54_5:
	global_load_ubyte v2, v[2:3], off offset:3
	s_mov_b32 s0, 0x60504
	s_waitcnt vmcnt(0)
	v_perm_b32 v1, v1, v2, s0
.LBB54_6:
	v_mov_b32_e32 v3, s3
	v_add_co_u32_e32 v2, vcc, s2, v0
	v_addc_co_u32_e32 v3, vcc, 0, v3, vcc
	global_store_dword v[2:3], v1, off
	s_endpgm
.LBB54_7:
	global_load_ubyte v4, v[2:3], off offset:1
	s_mov_b32 s0, 0x7060004
	s_waitcnt vmcnt(0)
	v_perm_b32 v1, v1, v4, s0
	s_cmp_lt_u32 s6, 3
	s_cbranch_scc1 .LBB54_4
.LBB54_8:
	global_load_ubyte v4, v[2:3], off offset:2
	s_mov_b32 s0, 0x7000504
	s_waitcnt vmcnt(0)
	v_perm_b32 v1, v1, v4, s0
	s_cmp_lt_u32 s6, 4
	s_cbranch_scc0 .LBB54_5
	s_branch .LBB54_6
	.section	.rodata,"a",@progbits
	.p2align	6, 0x0
	.amdhsa_kernel _Z24warp_load_guarded_kernelILj1024ELj4ELj1ELN7rocprim17ROCPRIM_304000_NS16warp_load_methodE1EaEvPT3_S4_iS3_
		.amdhsa_group_segment_fixed_size 0
		.amdhsa_private_segment_fixed_size 0
		.amdhsa_kernarg_size 24
		.amdhsa_user_sgpr_count 6
		.amdhsa_user_sgpr_private_segment_buffer 1
		.amdhsa_user_sgpr_dispatch_ptr 0
		.amdhsa_user_sgpr_queue_ptr 0
		.amdhsa_user_sgpr_kernarg_segment_ptr 1
		.amdhsa_user_sgpr_dispatch_id 0
		.amdhsa_user_sgpr_flat_scratch_init 0
		.amdhsa_user_sgpr_kernarg_preload_length 0
		.amdhsa_user_sgpr_kernarg_preload_offset 0
		.amdhsa_user_sgpr_private_segment_size 0
		.amdhsa_uses_dynamic_stack 0
		.amdhsa_system_sgpr_private_segment_wavefront_offset 0
		.amdhsa_system_sgpr_workgroup_id_x 1
		.amdhsa_system_sgpr_workgroup_id_y 0
		.amdhsa_system_sgpr_workgroup_id_z 0
		.amdhsa_system_sgpr_workgroup_info 0
		.amdhsa_system_vgpr_workitem_id 0
		.amdhsa_next_free_vgpr 5
		.amdhsa_next_free_sgpr 8
		.amdhsa_accum_offset 8
		.amdhsa_reserve_vcc 1
		.amdhsa_reserve_flat_scratch 0
		.amdhsa_float_round_mode_32 0
		.amdhsa_float_round_mode_16_64 0
		.amdhsa_float_denorm_mode_32 3
		.amdhsa_float_denorm_mode_16_64 3
		.amdhsa_dx10_clamp 1
		.amdhsa_ieee_mode 1
		.amdhsa_fp16_overflow 0
		.amdhsa_tg_split 0
		.amdhsa_exception_fp_ieee_invalid_op 0
		.amdhsa_exception_fp_denorm_src 0
		.amdhsa_exception_fp_ieee_div_zero 0
		.amdhsa_exception_fp_ieee_overflow 0
		.amdhsa_exception_fp_ieee_underflow 0
		.amdhsa_exception_fp_ieee_inexact 0
		.amdhsa_exception_int_div_zero 0
	.end_amdhsa_kernel
	.section	.text._Z24warp_load_guarded_kernelILj1024ELj4ELj1ELN7rocprim17ROCPRIM_304000_NS16warp_load_methodE1EaEvPT3_S4_iS3_,"axG",@progbits,_Z24warp_load_guarded_kernelILj1024ELj4ELj1ELN7rocprim17ROCPRIM_304000_NS16warp_load_methodE1EaEvPT3_S4_iS3_,comdat
.Lfunc_end54:
	.size	_Z24warp_load_guarded_kernelILj1024ELj4ELj1ELN7rocprim17ROCPRIM_304000_NS16warp_load_methodE1EaEvPT3_S4_iS3_, .Lfunc_end54-_Z24warp_load_guarded_kernelILj1024ELj4ELj1ELN7rocprim17ROCPRIM_304000_NS16warp_load_methodE1EaEvPT3_S4_iS3_
                                        ; -- End function
	.section	.AMDGPU.csdata,"",@progbits
; Kernel info:
; codeLenInByte = 252
; NumSgprs: 12
; NumVgprs: 5
; NumAgprs: 0
; TotalNumVgprs: 5
; ScratchSize: 0
; MemoryBound: 0
; FloatMode: 240
; IeeeMode: 1
; LDSByteSize: 0 bytes/workgroup (compile time only)
; SGPRBlocks: 1
; VGPRBlocks: 0
; NumSGPRsForWavesPerEU: 12
; NumVGPRsForWavesPerEU: 5
; AccumOffset: 8
; Occupancy: 8
; WaveLimiterHint : 0
; COMPUTE_PGM_RSRC2:SCRATCH_EN: 0
; COMPUTE_PGM_RSRC2:USER_SGPR: 6
; COMPUTE_PGM_RSRC2:TRAP_HANDLER: 0
; COMPUTE_PGM_RSRC2:TGID_X_EN: 1
; COMPUTE_PGM_RSRC2:TGID_Y_EN: 0
; COMPUTE_PGM_RSRC2:TGID_Z_EN: 0
; COMPUTE_PGM_RSRC2:TIDIG_COMP_CNT: 0
; COMPUTE_PGM_RSRC3_GFX90A:ACCUM_OFFSET: 1
; COMPUTE_PGM_RSRC3_GFX90A:TG_SPLIT: 0
	.section	.text._Z24warp_load_guarded_kernelILj1024ELj4ELj1ELN7rocprim17ROCPRIM_304000_NS16warp_load_methodE0EaEvPT3_S4_iS3_,"axG",@progbits,_Z24warp_load_guarded_kernelILj1024ELj4ELj1ELN7rocprim17ROCPRIM_304000_NS16warp_load_methodE0EaEvPT3_S4_iS3_,comdat
	.protected	_Z24warp_load_guarded_kernelILj1024ELj4ELj1ELN7rocprim17ROCPRIM_304000_NS16warp_load_methodE0EaEvPT3_S4_iS3_ ; -- Begin function _Z24warp_load_guarded_kernelILj1024ELj4ELj1ELN7rocprim17ROCPRIM_304000_NS16warp_load_methodE0EaEvPT3_S4_iS3_
	.globl	_Z24warp_load_guarded_kernelILj1024ELj4ELj1ELN7rocprim17ROCPRIM_304000_NS16warp_load_methodE0EaEvPT3_S4_iS3_
	.p2align	8
	.type	_Z24warp_load_guarded_kernelILj1024ELj4ELj1ELN7rocprim17ROCPRIM_304000_NS16warp_load_methodE0EaEvPT3_S4_iS3_,@function
_Z24warp_load_guarded_kernelILj1024ELj4ELj1ELN7rocprim17ROCPRIM_304000_NS16warp_load_methodE0EaEvPT3_S4_iS3_: ; @_Z24warp_load_guarded_kernelILj1024ELj4ELj1ELN7rocprim17ROCPRIM_304000_NS16warp_load_methodE0EaEvPT3_S4_iS3_
; %bb.0:
	s_load_dwordx4 s[0:3], s[4:5], 0x0
	s_load_dwordx2 s[6:7], s[4:5], 0x10
	v_lshlrev_b32_e32 v0, 2, v0
	s_waitcnt lgkmcnt(0)
	v_mov_b32_e32 v1, s1
	v_add_co_u32_e32 v2, vcc, s0, v0
	v_addc_co_u32_e32 v3, vcc, 0, v1, vcc
	v_lshlrev_b16_e64 v1, 8, s7
	v_or_b32_sdwa v1, s7, v1 dst_sel:DWORD dst_unused:UNUSED_PAD src0_sel:BYTE_0 src1_sel:DWORD
	v_lshlrev_b32_e32 v4, 16, v1
	s_cmp_eq_u32 s6, 0
	v_or_b32_sdwa v1, v1, v4 dst_sel:DWORD dst_unused:UNUSED_PAD src0_sel:WORD_0 src1_sel:DWORD
	s_cbranch_scc1 .LBB55_2
; %bb.1:
	global_load_ubyte v4, v[2:3], off
	s_mov_b32 s0, 0x3020104
	s_waitcnt vmcnt(0)
	v_perm_b32 v1, v4, v1, s0
.LBB55_2:
	s_cmp_lt_u32 s6, 2
	s_cbranch_scc0 .LBB55_7
; %bb.3:
	s_cmp_lt_u32 s6, 3
	s_cbranch_scc0 .LBB55_8
.LBB55_4:
	s_cmp_lt_u32 s6, 4
	s_cbranch_scc1 .LBB55_6
.LBB55_5:
	global_load_ubyte v2, v[2:3], off offset:3
	s_mov_b32 s0, 0x60504
	s_waitcnt vmcnt(0)
	v_perm_b32 v1, v1, v2, s0
.LBB55_6:
	v_mov_b32_e32 v3, s3
	v_add_co_u32_e32 v2, vcc, s2, v0
	v_addc_co_u32_e32 v3, vcc, 0, v3, vcc
	global_store_dword v[2:3], v1, off
	s_endpgm
.LBB55_7:
	global_load_ubyte v4, v[2:3], off offset:1
	s_mov_b32 s0, 0x7060004
	s_waitcnt vmcnt(0)
	v_perm_b32 v1, v1, v4, s0
	s_cmp_lt_u32 s6, 3
	s_cbranch_scc1 .LBB55_4
.LBB55_8:
	global_load_ubyte v4, v[2:3], off offset:2
	s_mov_b32 s0, 0x7000504
	s_waitcnt vmcnt(0)
	v_perm_b32 v1, v1, v4, s0
	s_cmp_lt_u32 s6, 4
	s_cbranch_scc0 .LBB55_5
	s_branch .LBB55_6
	.section	.rodata,"a",@progbits
	.p2align	6, 0x0
	.amdhsa_kernel _Z24warp_load_guarded_kernelILj1024ELj4ELj1ELN7rocprim17ROCPRIM_304000_NS16warp_load_methodE0EaEvPT3_S4_iS3_
		.amdhsa_group_segment_fixed_size 0
		.amdhsa_private_segment_fixed_size 0
		.amdhsa_kernarg_size 24
		.amdhsa_user_sgpr_count 6
		.amdhsa_user_sgpr_private_segment_buffer 1
		.amdhsa_user_sgpr_dispatch_ptr 0
		.amdhsa_user_sgpr_queue_ptr 0
		.amdhsa_user_sgpr_kernarg_segment_ptr 1
		.amdhsa_user_sgpr_dispatch_id 0
		.amdhsa_user_sgpr_flat_scratch_init 0
		.amdhsa_user_sgpr_kernarg_preload_length 0
		.amdhsa_user_sgpr_kernarg_preload_offset 0
		.amdhsa_user_sgpr_private_segment_size 0
		.amdhsa_uses_dynamic_stack 0
		.amdhsa_system_sgpr_private_segment_wavefront_offset 0
		.amdhsa_system_sgpr_workgroup_id_x 1
		.amdhsa_system_sgpr_workgroup_id_y 0
		.amdhsa_system_sgpr_workgroup_id_z 0
		.amdhsa_system_sgpr_workgroup_info 0
		.amdhsa_system_vgpr_workitem_id 0
		.amdhsa_next_free_vgpr 5
		.amdhsa_next_free_sgpr 8
		.amdhsa_accum_offset 8
		.amdhsa_reserve_vcc 1
		.amdhsa_reserve_flat_scratch 0
		.amdhsa_float_round_mode_32 0
		.amdhsa_float_round_mode_16_64 0
		.amdhsa_float_denorm_mode_32 3
		.amdhsa_float_denorm_mode_16_64 3
		.amdhsa_dx10_clamp 1
		.amdhsa_ieee_mode 1
		.amdhsa_fp16_overflow 0
		.amdhsa_tg_split 0
		.amdhsa_exception_fp_ieee_invalid_op 0
		.amdhsa_exception_fp_denorm_src 0
		.amdhsa_exception_fp_ieee_div_zero 0
		.amdhsa_exception_fp_ieee_overflow 0
		.amdhsa_exception_fp_ieee_underflow 0
		.amdhsa_exception_fp_ieee_inexact 0
		.amdhsa_exception_int_div_zero 0
	.end_amdhsa_kernel
	.section	.text._Z24warp_load_guarded_kernelILj1024ELj4ELj1ELN7rocprim17ROCPRIM_304000_NS16warp_load_methodE0EaEvPT3_S4_iS3_,"axG",@progbits,_Z24warp_load_guarded_kernelILj1024ELj4ELj1ELN7rocprim17ROCPRIM_304000_NS16warp_load_methodE0EaEvPT3_S4_iS3_,comdat
.Lfunc_end55:
	.size	_Z24warp_load_guarded_kernelILj1024ELj4ELj1ELN7rocprim17ROCPRIM_304000_NS16warp_load_methodE0EaEvPT3_S4_iS3_, .Lfunc_end55-_Z24warp_load_guarded_kernelILj1024ELj4ELj1ELN7rocprim17ROCPRIM_304000_NS16warp_load_methodE0EaEvPT3_S4_iS3_
                                        ; -- End function
	.section	.AMDGPU.csdata,"",@progbits
; Kernel info:
; codeLenInByte = 252
; NumSgprs: 12
; NumVgprs: 5
; NumAgprs: 0
; TotalNumVgprs: 5
; ScratchSize: 0
; MemoryBound: 0
; FloatMode: 240
; IeeeMode: 1
; LDSByteSize: 0 bytes/workgroup (compile time only)
; SGPRBlocks: 1
; VGPRBlocks: 0
; NumSGPRsForWavesPerEU: 12
; NumVGPRsForWavesPerEU: 5
; AccumOffset: 8
; Occupancy: 8
; WaveLimiterHint : 0
; COMPUTE_PGM_RSRC2:SCRATCH_EN: 0
; COMPUTE_PGM_RSRC2:USER_SGPR: 6
; COMPUTE_PGM_RSRC2:TRAP_HANDLER: 0
; COMPUTE_PGM_RSRC2:TGID_X_EN: 1
; COMPUTE_PGM_RSRC2:TGID_Y_EN: 0
; COMPUTE_PGM_RSRC2:TGID_Z_EN: 0
; COMPUTE_PGM_RSRC2:TIDIG_COMP_CNT: 0
; COMPUTE_PGM_RSRC3_GFX90A:ACCUM_OFFSET: 1
; COMPUTE_PGM_RSRC3_GFX90A:TG_SPLIT: 0
	.section	.text._Z24warp_load_guarded_kernelILj1024ELj4ELj32ELN7rocprim17ROCPRIM_304000_NS16warp_load_methodE3E15HIP_vector_typeIfLj2EEEvPT3_S6_iS5_,"axG",@progbits,_Z24warp_load_guarded_kernelILj1024ELj4ELj32ELN7rocprim17ROCPRIM_304000_NS16warp_load_methodE3E15HIP_vector_typeIfLj2EEEvPT3_S6_iS5_,comdat
	.protected	_Z24warp_load_guarded_kernelILj1024ELj4ELj32ELN7rocprim17ROCPRIM_304000_NS16warp_load_methodE3E15HIP_vector_typeIfLj2EEEvPT3_S6_iS5_ ; -- Begin function _Z24warp_load_guarded_kernelILj1024ELj4ELj32ELN7rocprim17ROCPRIM_304000_NS16warp_load_methodE3E15HIP_vector_typeIfLj2EEEvPT3_S6_iS5_
	.globl	_Z24warp_load_guarded_kernelILj1024ELj4ELj32ELN7rocprim17ROCPRIM_304000_NS16warp_load_methodE3E15HIP_vector_typeIfLj2EEEvPT3_S6_iS5_
	.p2align	8
	.type	_Z24warp_load_guarded_kernelILj1024ELj4ELj32ELN7rocprim17ROCPRIM_304000_NS16warp_load_methodE3E15HIP_vector_typeIfLj2EEEvPT3_S6_iS5_,@function
_Z24warp_load_guarded_kernelILj1024ELj4ELj32ELN7rocprim17ROCPRIM_304000_NS16warp_load_methodE3E15HIP_vector_typeIfLj2EEEvPT3_S6_iS5_: ; @_Z24warp_load_guarded_kernelILj1024ELj4ELj32ELN7rocprim17ROCPRIM_304000_NS16warp_load_methodE3E15HIP_vector_typeIfLj2EEEvPT3_S6_iS5_
; %bb.0:
	s_load_dwordx4 s[0:3], s[4:5], 0x0
	s_load_dword s8, s[4:5], 0x10
	s_load_dwordx2 s[6:7], s[4:5], 0x18
	v_lshrrev_b32_e32 v1, 5, v0
	v_mbcnt_lo_u32_b32 v4, -1, 0
	v_lshlrev_b32_e32 v2, 10, v1
	v_mbcnt_hi_u32_b32 v4, -1, v4
	s_waitcnt lgkmcnt(0)
	v_mov_b32_e32 v3, s1
	v_add_co_u32_e32 v2, vcc, s0, v2
	v_and_b32_e32 v12, 31, v4
	v_addc_co_u32_e32 v3, vcc, 0, v3, vcc
	v_lshlrev_b32_e32 v13, 3, v12
	v_add_co_u32_e32 v4, vcc, v2, v13
	v_addc_co_u32_e32 v5, vcc, 0, v3, vcc
	v_cmp_gt_u32_e32 vcc, s8, v12
	v_pk_mov_b32 v[2:3], s[6:7], s[6:7] op_sel:[0,1]
	s_and_saveexec_b64 s[0:1], vcc
	s_cbranch_execz .LBB56_2
; %bb.1:
	global_load_dwordx2 v[2:3], v[4:5], off
.LBB56_2:
	s_or_b64 exec, exec, s[0:1]
	v_or_b32_e32 v6, 32, v12
	v_cmp_gt_u32_e32 vcc, s8, v6
	v_pk_mov_b32 v[6:7], s[6:7], s[6:7] op_sel:[0,1]
	s_and_saveexec_b64 s[0:1], vcc
	s_cbranch_execz .LBB56_4
; %bb.3:
	global_load_dwordx2 v[6:7], v[4:5], off offset:256
.LBB56_4:
	s_or_b64 exec, exec, s[0:1]
	v_or_b32_e32 v8, 64, v12
	v_cmp_gt_u32_e32 vcc, s8, v8
	v_pk_mov_b32 v[8:9], s[6:7], s[6:7] op_sel:[0,1]
	s_and_saveexec_b64 s[0:1], vcc
	s_cbranch_execz .LBB56_6
; %bb.5:
	global_load_dwordx2 v[8:9], v[4:5], off offset:512
.LBB56_6:
	;; [unrolled: 9-line block ×3, first 2 shown]
	s_or_b64 exec, exec, s[0:1]
	v_lshl_or_b32 v1, v1, 10, v13
	s_waitcnt vmcnt(0)
	ds_write2_b64 v1, v[2:3], v[6:7] offset1:32
	ds_write2_b64 v1, v[8:9], v[10:11] offset0:64 offset1:96
	v_mad_u32_u24 v1, v12, 24, v1
	; wave barrier
	ds_read_b128 v[2:5], v1
	ds_read_b128 v[6:9], v1 offset:16
	v_lshlrev_b32_e32 v0, 5, v0
	s_waitcnt lgkmcnt(1)
	global_store_dwordx4 v0, v[2:5], s[2:3]
	s_waitcnt lgkmcnt(0)
	global_store_dwordx4 v0, v[6:9], s[2:3] offset:16
	s_endpgm
	.section	.rodata,"a",@progbits
	.p2align	6, 0x0
	.amdhsa_kernel _Z24warp_load_guarded_kernelILj1024ELj4ELj32ELN7rocprim17ROCPRIM_304000_NS16warp_load_methodE3E15HIP_vector_typeIfLj2EEEvPT3_S6_iS5_
		.amdhsa_group_segment_fixed_size 32768
		.amdhsa_private_segment_fixed_size 0
		.amdhsa_kernarg_size 32
		.amdhsa_user_sgpr_count 6
		.amdhsa_user_sgpr_private_segment_buffer 1
		.amdhsa_user_sgpr_dispatch_ptr 0
		.amdhsa_user_sgpr_queue_ptr 0
		.amdhsa_user_sgpr_kernarg_segment_ptr 1
		.amdhsa_user_sgpr_dispatch_id 0
		.amdhsa_user_sgpr_flat_scratch_init 0
		.amdhsa_user_sgpr_kernarg_preload_length 0
		.amdhsa_user_sgpr_kernarg_preload_offset 0
		.amdhsa_user_sgpr_private_segment_size 0
		.amdhsa_uses_dynamic_stack 0
		.amdhsa_system_sgpr_private_segment_wavefront_offset 0
		.amdhsa_system_sgpr_workgroup_id_x 1
		.amdhsa_system_sgpr_workgroup_id_y 0
		.amdhsa_system_sgpr_workgroup_id_z 0
		.amdhsa_system_sgpr_workgroup_info 0
		.amdhsa_system_vgpr_workitem_id 0
		.amdhsa_next_free_vgpr 14
		.amdhsa_next_free_sgpr 9
		.amdhsa_accum_offset 16
		.amdhsa_reserve_vcc 1
		.amdhsa_reserve_flat_scratch 0
		.amdhsa_float_round_mode_32 0
		.amdhsa_float_round_mode_16_64 0
		.amdhsa_float_denorm_mode_32 3
		.amdhsa_float_denorm_mode_16_64 3
		.amdhsa_dx10_clamp 1
		.amdhsa_ieee_mode 1
		.amdhsa_fp16_overflow 0
		.amdhsa_tg_split 0
		.amdhsa_exception_fp_ieee_invalid_op 0
		.amdhsa_exception_fp_denorm_src 0
		.amdhsa_exception_fp_ieee_div_zero 0
		.amdhsa_exception_fp_ieee_overflow 0
		.amdhsa_exception_fp_ieee_underflow 0
		.amdhsa_exception_fp_ieee_inexact 0
		.amdhsa_exception_int_div_zero 0
	.end_amdhsa_kernel
	.section	.text._Z24warp_load_guarded_kernelILj1024ELj4ELj32ELN7rocprim17ROCPRIM_304000_NS16warp_load_methodE3E15HIP_vector_typeIfLj2EEEvPT3_S6_iS5_,"axG",@progbits,_Z24warp_load_guarded_kernelILj1024ELj4ELj32ELN7rocprim17ROCPRIM_304000_NS16warp_load_methodE3E15HIP_vector_typeIfLj2EEEvPT3_S6_iS5_,comdat
.Lfunc_end56:
	.size	_Z24warp_load_guarded_kernelILj1024ELj4ELj32ELN7rocprim17ROCPRIM_304000_NS16warp_load_methodE3E15HIP_vector_typeIfLj2EEEvPT3_S6_iS5_, .Lfunc_end56-_Z24warp_load_guarded_kernelILj1024ELj4ELj32ELN7rocprim17ROCPRIM_304000_NS16warp_load_methodE3E15HIP_vector_typeIfLj2EEEvPT3_S6_iS5_
                                        ; -- End function
	.section	.AMDGPU.csdata,"",@progbits
; Kernel info:
; codeLenInByte = 308
; NumSgprs: 13
; NumVgprs: 14
; NumAgprs: 0
; TotalNumVgprs: 14
; ScratchSize: 0
; MemoryBound: 0
; FloatMode: 240
; IeeeMode: 1
; LDSByteSize: 32768 bytes/workgroup (compile time only)
; SGPRBlocks: 1
; VGPRBlocks: 1
; NumSGPRsForWavesPerEU: 13
; NumVGPRsForWavesPerEU: 14
; AccumOffset: 16
; Occupancy: 8
; WaveLimiterHint : 0
; COMPUTE_PGM_RSRC2:SCRATCH_EN: 0
; COMPUTE_PGM_RSRC2:USER_SGPR: 6
; COMPUTE_PGM_RSRC2:TRAP_HANDLER: 0
; COMPUTE_PGM_RSRC2:TGID_X_EN: 1
; COMPUTE_PGM_RSRC2:TGID_Y_EN: 0
; COMPUTE_PGM_RSRC2:TGID_Z_EN: 0
; COMPUTE_PGM_RSRC2:TIDIG_COMP_CNT: 0
; COMPUTE_PGM_RSRC3_GFX90A:ACCUM_OFFSET: 3
; COMPUTE_PGM_RSRC3_GFX90A:TG_SPLIT: 0
	.section	.text._Z24warp_load_guarded_kernelILj1024ELj4ELj32ELN7rocprim17ROCPRIM_304000_NS16warp_load_methodE2E15HIP_vector_typeIfLj2EEEvPT3_S6_iS5_,"axG",@progbits,_Z24warp_load_guarded_kernelILj1024ELj4ELj32ELN7rocprim17ROCPRIM_304000_NS16warp_load_methodE2E15HIP_vector_typeIfLj2EEEvPT3_S6_iS5_,comdat
	.protected	_Z24warp_load_guarded_kernelILj1024ELj4ELj32ELN7rocprim17ROCPRIM_304000_NS16warp_load_methodE2E15HIP_vector_typeIfLj2EEEvPT3_S6_iS5_ ; -- Begin function _Z24warp_load_guarded_kernelILj1024ELj4ELj32ELN7rocprim17ROCPRIM_304000_NS16warp_load_methodE2E15HIP_vector_typeIfLj2EEEvPT3_S6_iS5_
	.globl	_Z24warp_load_guarded_kernelILj1024ELj4ELj32ELN7rocprim17ROCPRIM_304000_NS16warp_load_methodE2E15HIP_vector_typeIfLj2EEEvPT3_S6_iS5_
	.p2align	8
	.type	_Z24warp_load_guarded_kernelILj1024ELj4ELj32ELN7rocprim17ROCPRIM_304000_NS16warp_load_methodE2E15HIP_vector_typeIfLj2EEEvPT3_S6_iS5_,@function
_Z24warp_load_guarded_kernelILj1024ELj4ELj32ELN7rocprim17ROCPRIM_304000_NS16warp_load_methodE2E15HIP_vector_typeIfLj2EEEvPT3_S6_iS5_: ; @_Z24warp_load_guarded_kernelILj1024ELj4ELj32ELN7rocprim17ROCPRIM_304000_NS16warp_load_methodE2E15HIP_vector_typeIfLj2EEEvPT3_S6_iS5_
; %bb.0:
	s_load_dwordx4 s[0:3], s[4:5], 0x0
	s_load_dword s8, s[4:5], 0x10
	s_load_dwordx2 s[6:7], s[4:5], 0x18
	v_lshlrev_b32_e32 v1, 5, v0
	v_and_b32_e32 v1, 0x7c00, v1
	s_waitcnt lgkmcnt(0)
	v_add_co_u32_e32 v3, vcc, s0, v1
	v_mbcnt_lo_u32_b32 v1, -1, 0
	v_mbcnt_hi_u32_b32 v1, -1, v1
	v_lshlrev_b32_e32 v1, 2, v1
	v_mov_b32_e32 v2, s1
	v_and_b32_e32 v1, 0x7c, v1
	v_addc_co_u32_e32 v2, vcc, 0, v2, vcc
	v_lshlrev_b32_e32 v4, 3, v1
	v_add_co_u32_e32 v10, vcc, v3, v4
	v_addc_co_u32_e32 v11, vcc, 0, v2, vcc
	v_cmp_gt_u32_e32 vcc, s8, v1
	v_pk_mov_b32 v[2:3], s[6:7], s[6:7] op_sel:[0,1]
	s_and_saveexec_b64 s[0:1], vcc
	s_cbranch_execz .LBB57_2
; %bb.1:
	global_load_dwordx2 v[2:3], v[10:11], off
.LBB57_2:
	s_or_b64 exec, exec, s[0:1]
	v_or_b32_e32 v4, 1, v1
	v_cmp_gt_u32_e32 vcc, s8, v4
	v_pk_mov_b32 v[4:5], s[6:7], s[6:7] op_sel:[0,1]
	s_and_saveexec_b64 s[0:1], vcc
	s_cbranch_execz .LBB57_4
; %bb.3:
	global_load_dwordx2 v[4:5], v[10:11], off offset:8
.LBB57_4:
	s_or_b64 exec, exec, s[0:1]
	v_or_b32_e32 v6, 2, v1
	v_cmp_gt_u32_e32 vcc, s8, v6
	v_pk_mov_b32 v[6:7], s[6:7], s[6:7] op_sel:[0,1]
	s_and_saveexec_b64 s[0:1], vcc
	s_cbranch_execz .LBB57_6
; %bb.5:
	global_load_dwordx2 v[6:7], v[10:11], off offset:16
.LBB57_6:
	s_or_b64 exec, exec, s[0:1]
	v_or_b32_e32 v1, 3, v1
	v_lshlrev_b32_e32 v0, 2, v0
	v_cmp_gt_u32_e32 vcc, s8, v1
	v_pk_mov_b32 v[8:9], s[6:7], s[6:7] op_sel:[0,1]
	s_and_saveexec_b64 s[0:1], vcc
	s_cbranch_execz .LBB57_8
; %bb.7:
	global_load_dwordx2 v[8:9], v[10:11], off offset:24
.LBB57_8:
	s_or_b64 exec, exec, s[0:1]
	v_lshlrev_b32_e32 v0, 3, v0
	s_waitcnt vmcnt(0)
	global_store_dwordx4 v0, v[2:5], s[2:3]
	global_store_dwordx4 v0, v[6:9], s[2:3] offset:16
	s_endpgm
	.section	.rodata,"a",@progbits
	.p2align	6, 0x0
	.amdhsa_kernel _Z24warp_load_guarded_kernelILj1024ELj4ELj32ELN7rocprim17ROCPRIM_304000_NS16warp_load_methodE2E15HIP_vector_typeIfLj2EEEvPT3_S6_iS5_
		.amdhsa_group_segment_fixed_size 0
		.amdhsa_private_segment_fixed_size 0
		.amdhsa_kernarg_size 32
		.amdhsa_user_sgpr_count 6
		.amdhsa_user_sgpr_private_segment_buffer 1
		.amdhsa_user_sgpr_dispatch_ptr 0
		.amdhsa_user_sgpr_queue_ptr 0
		.amdhsa_user_sgpr_kernarg_segment_ptr 1
		.amdhsa_user_sgpr_dispatch_id 0
		.amdhsa_user_sgpr_flat_scratch_init 0
		.amdhsa_user_sgpr_kernarg_preload_length 0
		.amdhsa_user_sgpr_kernarg_preload_offset 0
		.amdhsa_user_sgpr_private_segment_size 0
		.amdhsa_uses_dynamic_stack 0
		.amdhsa_system_sgpr_private_segment_wavefront_offset 0
		.amdhsa_system_sgpr_workgroup_id_x 1
		.amdhsa_system_sgpr_workgroup_id_y 0
		.amdhsa_system_sgpr_workgroup_id_z 0
		.amdhsa_system_sgpr_workgroup_info 0
		.amdhsa_system_vgpr_workitem_id 0
		.amdhsa_next_free_vgpr 12
		.amdhsa_next_free_sgpr 9
		.amdhsa_accum_offset 12
		.amdhsa_reserve_vcc 1
		.amdhsa_reserve_flat_scratch 0
		.amdhsa_float_round_mode_32 0
		.amdhsa_float_round_mode_16_64 0
		.amdhsa_float_denorm_mode_32 3
		.amdhsa_float_denorm_mode_16_64 3
		.amdhsa_dx10_clamp 1
		.amdhsa_ieee_mode 1
		.amdhsa_fp16_overflow 0
		.amdhsa_tg_split 0
		.amdhsa_exception_fp_ieee_invalid_op 0
		.amdhsa_exception_fp_denorm_src 0
		.amdhsa_exception_fp_ieee_div_zero 0
		.amdhsa_exception_fp_ieee_overflow 0
		.amdhsa_exception_fp_ieee_underflow 0
		.amdhsa_exception_fp_ieee_inexact 0
		.amdhsa_exception_int_div_zero 0
	.end_amdhsa_kernel
	.section	.text._Z24warp_load_guarded_kernelILj1024ELj4ELj32ELN7rocprim17ROCPRIM_304000_NS16warp_load_methodE2E15HIP_vector_typeIfLj2EEEvPT3_S6_iS5_,"axG",@progbits,_Z24warp_load_guarded_kernelILj1024ELj4ELj32ELN7rocprim17ROCPRIM_304000_NS16warp_load_methodE2E15HIP_vector_typeIfLj2EEEvPT3_S6_iS5_,comdat
.Lfunc_end57:
	.size	_Z24warp_load_guarded_kernelILj1024ELj4ELj32ELN7rocprim17ROCPRIM_304000_NS16warp_load_methodE2E15HIP_vector_typeIfLj2EEEvPT3_S6_iS5_, .Lfunc_end57-_Z24warp_load_guarded_kernelILj1024ELj4ELj32ELN7rocprim17ROCPRIM_304000_NS16warp_load_methodE2E15HIP_vector_typeIfLj2EEEvPT3_S6_iS5_
                                        ; -- End function
	.section	.AMDGPU.csdata,"",@progbits
; Kernel info:
; codeLenInByte = 264
; NumSgprs: 13
; NumVgprs: 12
; NumAgprs: 0
; TotalNumVgprs: 12
; ScratchSize: 0
; MemoryBound: 0
; FloatMode: 240
; IeeeMode: 1
; LDSByteSize: 0 bytes/workgroup (compile time only)
; SGPRBlocks: 1
; VGPRBlocks: 1
; NumSGPRsForWavesPerEU: 13
; NumVGPRsForWavesPerEU: 12
; AccumOffset: 12
; Occupancy: 8
; WaveLimiterHint : 0
; COMPUTE_PGM_RSRC2:SCRATCH_EN: 0
; COMPUTE_PGM_RSRC2:USER_SGPR: 6
; COMPUTE_PGM_RSRC2:TRAP_HANDLER: 0
; COMPUTE_PGM_RSRC2:TGID_X_EN: 1
; COMPUTE_PGM_RSRC2:TGID_Y_EN: 0
; COMPUTE_PGM_RSRC2:TGID_Z_EN: 0
; COMPUTE_PGM_RSRC2:TIDIG_COMP_CNT: 0
; COMPUTE_PGM_RSRC3_GFX90A:ACCUM_OFFSET: 2
; COMPUTE_PGM_RSRC3_GFX90A:TG_SPLIT: 0
	.section	.text._Z24warp_load_guarded_kernelILj1024ELj4ELj32ELN7rocprim17ROCPRIM_304000_NS16warp_load_methodE1E15HIP_vector_typeIfLj2EEEvPT3_S6_iS5_,"axG",@progbits,_Z24warp_load_guarded_kernelILj1024ELj4ELj32ELN7rocprim17ROCPRIM_304000_NS16warp_load_methodE1E15HIP_vector_typeIfLj2EEEvPT3_S6_iS5_,comdat
	.protected	_Z24warp_load_guarded_kernelILj1024ELj4ELj32ELN7rocprim17ROCPRIM_304000_NS16warp_load_methodE1E15HIP_vector_typeIfLj2EEEvPT3_S6_iS5_ ; -- Begin function _Z24warp_load_guarded_kernelILj1024ELj4ELj32ELN7rocprim17ROCPRIM_304000_NS16warp_load_methodE1E15HIP_vector_typeIfLj2EEEvPT3_S6_iS5_
	.globl	_Z24warp_load_guarded_kernelILj1024ELj4ELj32ELN7rocprim17ROCPRIM_304000_NS16warp_load_methodE1E15HIP_vector_typeIfLj2EEEvPT3_S6_iS5_
	.p2align	8
	.type	_Z24warp_load_guarded_kernelILj1024ELj4ELj32ELN7rocprim17ROCPRIM_304000_NS16warp_load_methodE1E15HIP_vector_typeIfLj2EEEvPT3_S6_iS5_,@function
_Z24warp_load_guarded_kernelILj1024ELj4ELj32ELN7rocprim17ROCPRIM_304000_NS16warp_load_methodE1E15HIP_vector_typeIfLj2EEEvPT3_S6_iS5_: ; @_Z24warp_load_guarded_kernelILj1024ELj4ELj32ELN7rocprim17ROCPRIM_304000_NS16warp_load_methodE1E15HIP_vector_typeIfLj2EEEvPT3_S6_iS5_
; %bb.0:
	s_load_dwordx4 s[0:3], s[4:5], 0x0
	s_load_dword s8, s[4:5], 0x10
	s_load_dwordx2 s[6:7], s[4:5], 0x18
	v_lshlrev_b32_e32 v1, 5, v0
	v_and_b32_e32 v1, 0x7c00, v1
	s_waitcnt lgkmcnt(0)
	v_add_co_u32_e32 v3, vcc, s0, v1
	v_mbcnt_lo_u32_b32 v1, -1, 0
	v_mbcnt_hi_u32_b32 v1, -1, v1
	v_mov_b32_e32 v2, s1
	v_and_b32_e32 v1, 31, v1
	v_addc_co_u32_e32 v2, vcc, 0, v2, vcc
	v_lshlrev_b32_e32 v4, 3, v1
	v_add_co_u32_e32 v10, vcc, v3, v4
	v_addc_co_u32_e32 v11, vcc, 0, v2, vcc
	v_cmp_gt_u32_e32 vcc, s8, v1
	v_pk_mov_b32 v[2:3], s[6:7], s[6:7] op_sel:[0,1]
	s_and_saveexec_b64 s[0:1], vcc
	s_cbranch_execz .LBB58_2
; %bb.1:
	global_load_dwordx2 v[2:3], v[10:11], off
.LBB58_2:
	s_or_b64 exec, exec, s[0:1]
	v_or_b32_e32 v4, 32, v1
	v_cmp_gt_u32_e32 vcc, s8, v4
	v_pk_mov_b32 v[4:5], s[6:7], s[6:7] op_sel:[0,1]
	s_and_saveexec_b64 s[0:1], vcc
	s_cbranch_execz .LBB58_4
; %bb.3:
	global_load_dwordx2 v[4:5], v[10:11], off offset:256
.LBB58_4:
	s_or_b64 exec, exec, s[0:1]
	v_or_b32_e32 v6, 64, v1
	v_cmp_gt_u32_e32 vcc, s8, v6
	v_pk_mov_b32 v[6:7], s[6:7], s[6:7] op_sel:[0,1]
	s_and_saveexec_b64 s[0:1], vcc
	s_cbranch_execz .LBB58_6
; %bb.5:
	global_load_dwordx2 v[6:7], v[10:11], off offset:512
.LBB58_6:
	s_or_b64 exec, exec, s[0:1]
	v_or_b32_e32 v1, 0x60, v1
	v_lshlrev_b32_e32 v0, 2, v0
	v_cmp_gt_u32_e32 vcc, s8, v1
	v_pk_mov_b32 v[8:9], s[6:7], s[6:7] op_sel:[0,1]
	s_and_saveexec_b64 s[0:1], vcc
	s_cbranch_execz .LBB58_8
; %bb.7:
	global_load_dwordx2 v[8:9], v[10:11], off offset:768
.LBB58_8:
	s_or_b64 exec, exec, s[0:1]
	v_lshlrev_b32_e32 v0, 3, v0
	s_waitcnt vmcnt(0)
	global_store_dwordx4 v0, v[2:5], s[2:3]
	global_store_dwordx4 v0, v[6:9], s[2:3] offset:16
	s_endpgm
	.section	.rodata,"a",@progbits
	.p2align	6, 0x0
	.amdhsa_kernel _Z24warp_load_guarded_kernelILj1024ELj4ELj32ELN7rocprim17ROCPRIM_304000_NS16warp_load_methodE1E15HIP_vector_typeIfLj2EEEvPT3_S6_iS5_
		.amdhsa_group_segment_fixed_size 0
		.amdhsa_private_segment_fixed_size 0
		.amdhsa_kernarg_size 32
		.amdhsa_user_sgpr_count 6
		.amdhsa_user_sgpr_private_segment_buffer 1
		.amdhsa_user_sgpr_dispatch_ptr 0
		.amdhsa_user_sgpr_queue_ptr 0
		.amdhsa_user_sgpr_kernarg_segment_ptr 1
		.amdhsa_user_sgpr_dispatch_id 0
		.amdhsa_user_sgpr_flat_scratch_init 0
		.amdhsa_user_sgpr_kernarg_preload_length 0
		.amdhsa_user_sgpr_kernarg_preload_offset 0
		.amdhsa_user_sgpr_private_segment_size 0
		.amdhsa_uses_dynamic_stack 0
		.amdhsa_system_sgpr_private_segment_wavefront_offset 0
		.amdhsa_system_sgpr_workgroup_id_x 1
		.amdhsa_system_sgpr_workgroup_id_y 0
		.amdhsa_system_sgpr_workgroup_id_z 0
		.amdhsa_system_sgpr_workgroup_info 0
		.amdhsa_system_vgpr_workitem_id 0
		.amdhsa_next_free_vgpr 12
		.amdhsa_next_free_sgpr 9
		.amdhsa_accum_offset 12
		.amdhsa_reserve_vcc 1
		.amdhsa_reserve_flat_scratch 0
		.amdhsa_float_round_mode_32 0
		.amdhsa_float_round_mode_16_64 0
		.amdhsa_float_denorm_mode_32 3
		.amdhsa_float_denorm_mode_16_64 3
		.amdhsa_dx10_clamp 1
		.amdhsa_ieee_mode 1
		.amdhsa_fp16_overflow 0
		.amdhsa_tg_split 0
		.amdhsa_exception_fp_ieee_invalid_op 0
		.amdhsa_exception_fp_denorm_src 0
		.amdhsa_exception_fp_ieee_div_zero 0
		.amdhsa_exception_fp_ieee_overflow 0
		.amdhsa_exception_fp_ieee_underflow 0
		.amdhsa_exception_fp_ieee_inexact 0
		.amdhsa_exception_int_div_zero 0
	.end_amdhsa_kernel
	.section	.text._Z24warp_load_guarded_kernelILj1024ELj4ELj32ELN7rocprim17ROCPRIM_304000_NS16warp_load_methodE1E15HIP_vector_typeIfLj2EEEvPT3_S6_iS5_,"axG",@progbits,_Z24warp_load_guarded_kernelILj1024ELj4ELj32ELN7rocprim17ROCPRIM_304000_NS16warp_load_methodE1E15HIP_vector_typeIfLj2EEEvPT3_S6_iS5_,comdat
.Lfunc_end58:
	.size	_Z24warp_load_guarded_kernelILj1024ELj4ELj32ELN7rocprim17ROCPRIM_304000_NS16warp_load_methodE1E15HIP_vector_typeIfLj2EEEvPT3_S6_iS5_, .Lfunc_end58-_Z24warp_load_guarded_kernelILj1024ELj4ELj32ELN7rocprim17ROCPRIM_304000_NS16warp_load_methodE1E15HIP_vector_typeIfLj2EEEvPT3_S6_iS5_
                                        ; -- End function
	.section	.AMDGPU.csdata,"",@progbits
; Kernel info:
; codeLenInByte = 260
; NumSgprs: 13
; NumVgprs: 12
; NumAgprs: 0
; TotalNumVgprs: 12
; ScratchSize: 0
; MemoryBound: 0
; FloatMode: 240
; IeeeMode: 1
; LDSByteSize: 0 bytes/workgroup (compile time only)
; SGPRBlocks: 1
; VGPRBlocks: 1
; NumSGPRsForWavesPerEU: 13
; NumVGPRsForWavesPerEU: 12
; AccumOffset: 12
; Occupancy: 8
; WaveLimiterHint : 0
; COMPUTE_PGM_RSRC2:SCRATCH_EN: 0
; COMPUTE_PGM_RSRC2:USER_SGPR: 6
; COMPUTE_PGM_RSRC2:TRAP_HANDLER: 0
; COMPUTE_PGM_RSRC2:TGID_X_EN: 1
; COMPUTE_PGM_RSRC2:TGID_Y_EN: 0
; COMPUTE_PGM_RSRC2:TGID_Z_EN: 0
; COMPUTE_PGM_RSRC2:TIDIG_COMP_CNT: 0
; COMPUTE_PGM_RSRC3_GFX90A:ACCUM_OFFSET: 2
; COMPUTE_PGM_RSRC3_GFX90A:TG_SPLIT: 0
	.section	.text._Z24warp_load_guarded_kernelILj1024ELj4ELj32ELN7rocprim17ROCPRIM_304000_NS16warp_load_methodE0E15HIP_vector_typeIfLj2EEEvPT3_S6_iS5_,"axG",@progbits,_Z24warp_load_guarded_kernelILj1024ELj4ELj32ELN7rocprim17ROCPRIM_304000_NS16warp_load_methodE0E15HIP_vector_typeIfLj2EEEvPT3_S6_iS5_,comdat
	.protected	_Z24warp_load_guarded_kernelILj1024ELj4ELj32ELN7rocprim17ROCPRIM_304000_NS16warp_load_methodE0E15HIP_vector_typeIfLj2EEEvPT3_S6_iS5_ ; -- Begin function _Z24warp_load_guarded_kernelILj1024ELj4ELj32ELN7rocprim17ROCPRIM_304000_NS16warp_load_methodE0E15HIP_vector_typeIfLj2EEEvPT3_S6_iS5_
	.globl	_Z24warp_load_guarded_kernelILj1024ELj4ELj32ELN7rocprim17ROCPRIM_304000_NS16warp_load_methodE0E15HIP_vector_typeIfLj2EEEvPT3_S6_iS5_
	.p2align	8
	.type	_Z24warp_load_guarded_kernelILj1024ELj4ELj32ELN7rocprim17ROCPRIM_304000_NS16warp_load_methodE0E15HIP_vector_typeIfLj2EEEvPT3_S6_iS5_,@function
_Z24warp_load_guarded_kernelILj1024ELj4ELj32ELN7rocprim17ROCPRIM_304000_NS16warp_load_methodE0E15HIP_vector_typeIfLj2EEEvPT3_S6_iS5_: ; @_Z24warp_load_guarded_kernelILj1024ELj4ELj32ELN7rocprim17ROCPRIM_304000_NS16warp_load_methodE0E15HIP_vector_typeIfLj2EEEvPT3_S6_iS5_
; %bb.0:
	s_load_dwordx4 s[0:3], s[4:5], 0x0
	s_load_dword s8, s[4:5], 0x10
	s_load_dwordx2 s[6:7], s[4:5], 0x18
	v_lshlrev_b32_e32 v1, 5, v0
	v_and_b32_e32 v1, 0x7c00, v1
	s_waitcnt lgkmcnt(0)
	v_add_co_u32_e32 v3, vcc, s0, v1
	v_mbcnt_lo_u32_b32 v1, -1, 0
	v_mbcnt_hi_u32_b32 v1, -1, v1
	v_lshlrev_b32_e32 v1, 2, v1
	v_mov_b32_e32 v2, s1
	v_and_b32_e32 v1, 0x7c, v1
	v_addc_co_u32_e32 v2, vcc, 0, v2, vcc
	v_lshlrev_b32_e32 v4, 3, v1
	v_add_co_u32_e32 v10, vcc, v3, v4
	v_addc_co_u32_e32 v11, vcc, 0, v2, vcc
	v_cmp_gt_u32_e32 vcc, s8, v1
	v_pk_mov_b32 v[2:3], s[6:7], s[6:7] op_sel:[0,1]
	s_and_saveexec_b64 s[0:1], vcc
	s_cbranch_execz .LBB59_2
; %bb.1:
	global_load_dwordx2 v[2:3], v[10:11], off
.LBB59_2:
	s_or_b64 exec, exec, s[0:1]
	v_or_b32_e32 v4, 1, v1
	v_cmp_gt_u32_e32 vcc, s8, v4
	v_pk_mov_b32 v[4:5], s[6:7], s[6:7] op_sel:[0,1]
	s_and_saveexec_b64 s[0:1], vcc
	s_cbranch_execz .LBB59_4
; %bb.3:
	global_load_dwordx2 v[4:5], v[10:11], off offset:8
.LBB59_4:
	s_or_b64 exec, exec, s[0:1]
	v_or_b32_e32 v6, 2, v1
	v_cmp_gt_u32_e32 vcc, s8, v6
	v_pk_mov_b32 v[6:7], s[6:7], s[6:7] op_sel:[0,1]
	s_and_saveexec_b64 s[0:1], vcc
	s_cbranch_execz .LBB59_6
; %bb.5:
	global_load_dwordx2 v[6:7], v[10:11], off offset:16
.LBB59_6:
	s_or_b64 exec, exec, s[0:1]
	v_or_b32_e32 v1, 3, v1
	v_lshlrev_b32_e32 v0, 2, v0
	v_cmp_gt_u32_e32 vcc, s8, v1
	v_pk_mov_b32 v[8:9], s[6:7], s[6:7] op_sel:[0,1]
	s_and_saveexec_b64 s[0:1], vcc
	s_cbranch_execz .LBB59_8
; %bb.7:
	global_load_dwordx2 v[8:9], v[10:11], off offset:24
.LBB59_8:
	s_or_b64 exec, exec, s[0:1]
	v_lshlrev_b32_e32 v0, 3, v0
	s_waitcnt vmcnt(0)
	global_store_dwordx4 v0, v[2:5], s[2:3]
	global_store_dwordx4 v0, v[6:9], s[2:3] offset:16
	s_endpgm
	.section	.rodata,"a",@progbits
	.p2align	6, 0x0
	.amdhsa_kernel _Z24warp_load_guarded_kernelILj1024ELj4ELj32ELN7rocprim17ROCPRIM_304000_NS16warp_load_methodE0E15HIP_vector_typeIfLj2EEEvPT3_S6_iS5_
		.amdhsa_group_segment_fixed_size 0
		.amdhsa_private_segment_fixed_size 0
		.amdhsa_kernarg_size 32
		.amdhsa_user_sgpr_count 6
		.amdhsa_user_sgpr_private_segment_buffer 1
		.amdhsa_user_sgpr_dispatch_ptr 0
		.amdhsa_user_sgpr_queue_ptr 0
		.amdhsa_user_sgpr_kernarg_segment_ptr 1
		.amdhsa_user_sgpr_dispatch_id 0
		.amdhsa_user_sgpr_flat_scratch_init 0
		.amdhsa_user_sgpr_kernarg_preload_length 0
		.amdhsa_user_sgpr_kernarg_preload_offset 0
		.amdhsa_user_sgpr_private_segment_size 0
		.amdhsa_uses_dynamic_stack 0
		.amdhsa_system_sgpr_private_segment_wavefront_offset 0
		.amdhsa_system_sgpr_workgroup_id_x 1
		.amdhsa_system_sgpr_workgroup_id_y 0
		.amdhsa_system_sgpr_workgroup_id_z 0
		.amdhsa_system_sgpr_workgroup_info 0
		.amdhsa_system_vgpr_workitem_id 0
		.amdhsa_next_free_vgpr 12
		.amdhsa_next_free_sgpr 9
		.amdhsa_accum_offset 12
		.amdhsa_reserve_vcc 1
		.amdhsa_reserve_flat_scratch 0
		.amdhsa_float_round_mode_32 0
		.amdhsa_float_round_mode_16_64 0
		.amdhsa_float_denorm_mode_32 3
		.amdhsa_float_denorm_mode_16_64 3
		.amdhsa_dx10_clamp 1
		.amdhsa_ieee_mode 1
		.amdhsa_fp16_overflow 0
		.amdhsa_tg_split 0
		.amdhsa_exception_fp_ieee_invalid_op 0
		.amdhsa_exception_fp_denorm_src 0
		.amdhsa_exception_fp_ieee_div_zero 0
		.amdhsa_exception_fp_ieee_overflow 0
		.amdhsa_exception_fp_ieee_underflow 0
		.amdhsa_exception_fp_ieee_inexact 0
		.amdhsa_exception_int_div_zero 0
	.end_amdhsa_kernel
	.section	.text._Z24warp_load_guarded_kernelILj1024ELj4ELj32ELN7rocprim17ROCPRIM_304000_NS16warp_load_methodE0E15HIP_vector_typeIfLj2EEEvPT3_S6_iS5_,"axG",@progbits,_Z24warp_load_guarded_kernelILj1024ELj4ELj32ELN7rocprim17ROCPRIM_304000_NS16warp_load_methodE0E15HIP_vector_typeIfLj2EEEvPT3_S6_iS5_,comdat
.Lfunc_end59:
	.size	_Z24warp_load_guarded_kernelILj1024ELj4ELj32ELN7rocprim17ROCPRIM_304000_NS16warp_load_methodE0E15HIP_vector_typeIfLj2EEEvPT3_S6_iS5_, .Lfunc_end59-_Z24warp_load_guarded_kernelILj1024ELj4ELj32ELN7rocprim17ROCPRIM_304000_NS16warp_load_methodE0E15HIP_vector_typeIfLj2EEEvPT3_S6_iS5_
                                        ; -- End function
	.section	.AMDGPU.csdata,"",@progbits
; Kernel info:
; codeLenInByte = 264
; NumSgprs: 13
; NumVgprs: 12
; NumAgprs: 0
; TotalNumVgprs: 12
; ScratchSize: 0
; MemoryBound: 0
; FloatMode: 240
; IeeeMode: 1
; LDSByteSize: 0 bytes/workgroup (compile time only)
; SGPRBlocks: 1
; VGPRBlocks: 1
; NumSGPRsForWavesPerEU: 13
; NumVGPRsForWavesPerEU: 12
; AccumOffset: 12
; Occupancy: 8
; WaveLimiterHint : 0
; COMPUTE_PGM_RSRC2:SCRATCH_EN: 0
; COMPUTE_PGM_RSRC2:USER_SGPR: 6
; COMPUTE_PGM_RSRC2:TRAP_HANDLER: 0
; COMPUTE_PGM_RSRC2:TGID_X_EN: 1
; COMPUTE_PGM_RSRC2:TGID_Y_EN: 0
; COMPUTE_PGM_RSRC2:TGID_Z_EN: 0
; COMPUTE_PGM_RSRC2:TIDIG_COMP_CNT: 0
; COMPUTE_PGM_RSRC3_GFX90A:ACCUM_OFFSET: 2
; COMPUTE_PGM_RSRC3_GFX90A:TG_SPLIT: 0
	.section	.text._Z24warp_load_guarded_kernelILj1024ELj4ELj64ELN7rocprim17ROCPRIM_304000_NS16warp_load_methodE3EiEvPT3_S4_iS3_,"axG",@progbits,_Z24warp_load_guarded_kernelILj1024ELj4ELj64ELN7rocprim17ROCPRIM_304000_NS16warp_load_methodE3EiEvPT3_S4_iS3_,comdat
	.protected	_Z24warp_load_guarded_kernelILj1024ELj4ELj64ELN7rocprim17ROCPRIM_304000_NS16warp_load_methodE3EiEvPT3_S4_iS3_ ; -- Begin function _Z24warp_load_guarded_kernelILj1024ELj4ELj64ELN7rocprim17ROCPRIM_304000_NS16warp_load_methodE3EiEvPT3_S4_iS3_
	.globl	_Z24warp_load_guarded_kernelILj1024ELj4ELj64ELN7rocprim17ROCPRIM_304000_NS16warp_load_methodE3EiEvPT3_S4_iS3_
	.p2align	8
	.type	_Z24warp_load_guarded_kernelILj1024ELj4ELj64ELN7rocprim17ROCPRIM_304000_NS16warp_load_methodE3EiEvPT3_S4_iS3_,@function
_Z24warp_load_guarded_kernelILj1024ELj4ELj64ELN7rocprim17ROCPRIM_304000_NS16warp_load_methodE3EiEvPT3_S4_iS3_: ; @_Z24warp_load_guarded_kernelILj1024ELj4ELj64ELN7rocprim17ROCPRIM_304000_NS16warp_load_methodE3EiEvPT3_S4_iS3_
; %bb.0:
	s_load_dwordx4 s[0:3], s[4:5], 0x0
	s_load_dwordx2 s[8:9], s[4:5], 0x10
	v_lshrrev_b32_e32 v1, 6, v0
	v_lshlrev_b32_e32 v1, 10, v1
	v_mbcnt_lo_u32_b32 v4, -1, 0
	s_waitcnt lgkmcnt(0)
	v_mov_b32_e32 v2, s1
	v_add_co_u32_e32 v3, vcc, s0, v1
	v_mbcnt_hi_u32_b32 v9, -1, v4
	v_addc_co_u32_e32 v2, vcc, 0, v2, vcc
	v_lshlrev_b32_e32 v8, 2, v9
	v_and_b32_e32 v4, 0x100, v8
	v_add_co_u32_e32 v3, vcc, v3, v8
	v_addc_co_u32_e32 v2, vcc, 0, v2, vcc
	v_lshlrev_b32_e32 v5, 2, v4
	s_mov_b32 s4, s9
	s_mov_b32 s5, s9
	v_add_co_u32_e32 v6, vcc, v3, v5
	s_mov_b32 s6, s9
	s_mov_b32 s7, s9
	v_addc_co_u32_e32 v7, vcc, 0, v2, vcc
	v_or_b32_e32 v11, v4, v9
	v_pk_mov_b32 v[2:3], s[4:5], s[4:5] op_sel:[0,1]
	v_cmp_gt_u32_e32 vcc, s8, v11
	v_pk_mov_b32 v[4:5], s[6:7], s[6:7] op_sel:[0,1]
	v_mov_b32_e32 v10, s9
	s_and_saveexec_b64 s[0:1], vcc
	s_cbranch_execz .LBB60_2
; %bb.1:
	global_load_dword v10, v[6:7], off
	v_pk_mov_b32 v[2:3], s[4:5], s[4:5] op_sel:[0,1]
	v_pk_mov_b32 v[4:5], s[6:7], s[6:7] op_sel:[0,1]
                                        ; kill: def $vgpr2 killed $vgpr10 killed $exec
.LBB60_2:
	s_or_b64 exec, exec, s[0:1]
	v_add_u32_e32 v2, 64, v11
	v_cmp_gt_u32_e32 vcc, s8, v2
	s_and_saveexec_b64 s[0:1], vcc
	s_cbranch_execz .LBB60_4
; %bb.3:
	global_load_dword v3, v[6:7], off offset:256
.LBB60_4:
	s_or_b64 exec, exec, s[0:1]
	v_add_u32_e32 v2, 0x80, v11
	v_cmp_gt_u32_e32 vcc, s8, v2
	s_and_saveexec_b64 s[0:1], vcc
	s_cbranch_execz .LBB60_6
; %bb.5:
	global_load_dword v4, v[6:7], off offset:512
.LBB60_6:
	;; [unrolled: 8-line block ×3, first 2 shown]
	s_or_b64 exec, exec, s[0:1]
	v_lshl_or_b32 v2, v9, 2, v1
	v_lshl_add_u32 v1, v8, 2, v1
	s_waitcnt vmcnt(0)
	ds_write2st64_b32 v2, v10, v3 offset1:1
	ds_write2st64_b32 v2, v4, v5 offset0:2 offset1:3
	; wave barrier
	ds_read_b128 v[2:5], v1
	v_lshlrev_b32_e32 v0, 4, v0
	s_waitcnt lgkmcnt(0)
	global_store_dwordx4 v0, v[2:5], s[2:3]
	s_endpgm
	.section	.rodata,"a",@progbits
	.p2align	6, 0x0
	.amdhsa_kernel _Z24warp_load_guarded_kernelILj1024ELj4ELj64ELN7rocprim17ROCPRIM_304000_NS16warp_load_methodE3EiEvPT3_S4_iS3_
		.amdhsa_group_segment_fixed_size 16384
		.amdhsa_private_segment_fixed_size 0
		.amdhsa_kernarg_size 24
		.amdhsa_user_sgpr_count 6
		.amdhsa_user_sgpr_private_segment_buffer 1
		.amdhsa_user_sgpr_dispatch_ptr 0
		.amdhsa_user_sgpr_queue_ptr 0
		.amdhsa_user_sgpr_kernarg_segment_ptr 1
		.amdhsa_user_sgpr_dispatch_id 0
		.amdhsa_user_sgpr_flat_scratch_init 0
		.amdhsa_user_sgpr_kernarg_preload_length 0
		.amdhsa_user_sgpr_kernarg_preload_offset 0
		.amdhsa_user_sgpr_private_segment_size 0
		.amdhsa_uses_dynamic_stack 0
		.amdhsa_system_sgpr_private_segment_wavefront_offset 0
		.amdhsa_system_sgpr_workgroup_id_x 1
		.amdhsa_system_sgpr_workgroup_id_y 0
		.amdhsa_system_sgpr_workgroup_id_z 0
		.amdhsa_system_sgpr_workgroup_info 0
		.amdhsa_system_vgpr_workitem_id 0
		.amdhsa_next_free_vgpr 12
		.amdhsa_next_free_sgpr 10
		.amdhsa_accum_offset 12
		.amdhsa_reserve_vcc 1
		.amdhsa_reserve_flat_scratch 0
		.amdhsa_float_round_mode_32 0
		.amdhsa_float_round_mode_16_64 0
		.amdhsa_float_denorm_mode_32 3
		.amdhsa_float_denorm_mode_16_64 3
		.amdhsa_dx10_clamp 1
		.amdhsa_ieee_mode 1
		.amdhsa_fp16_overflow 0
		.amdhsa_tg_split 0
		.amdhsa_exception_fp_ieee_invalid_op 0
		.amdhsa_exception_fp_denorm_src 0
		.amdhsa_exception_fp_ieee_div_zero 0
		.amdhsa_exception_fp_ieee_overflow 0
		.amdhsa_exception_fp_ieee_underflow 0
		.amdhsa_exception_fp_ieee_inexact 0
		.amdhsa_exception_int_div_zero 0
	.end_amdhsa_kernel
	.section	.text._Z24warp_load_guarded_kernelILj1024ELj4ELj64ELN7rocprim17ROCPRIM_304000_NS16warp_load_methodE3EiEvPT3_S4_iS3_,"axG",@progbits,_Z24warp_load_guarded_kernelILj1024ELj4ELj64ELN7rocprim17ROCPRIM_304000_NS16warp_load_methodE3EiEvPT3_S4_iS3_,comdat
.Lfunc_end60:
	.size	_Z24warp_load_guarded_kernelILj1024ELj4ELj64ELN7rocprim17ROCPRIM_304000_NS16warp_load_methodE3EiEvPT3_S4_iS3_, .Lfunc_end60-_Z24warp_load_guarded_kernelILj1024ELj4ELj64ELN7rocprim17ROCPRIM_304000_NS16warp_load_methodE3EiEvPT3_S4_iS3_
                                        ; -- End function
	.section	.AMDGPU.csdata,"",@progbits
; Kernel info:
; codeLenInByte = 324
; NumSgprs: 14
; NumVgprs: 12
; NumAgprs: 0
; TotalNumVgprs: 12
; ScratchSize: 0
; MemoryBound: 0
; FloatMode: 240
; IeeeMode: 1
; LDSByteSize: 16384 bytes/workgroup (compile time only)
; SGPRBlocks: 1
; VGPRBlocks: 1
; NumSGPRsForWavesPerEU: 14
; NumVGPRsForWavesPerEU: 12
; AccumOffset: 12
; Occupancy: 8
; WaveLimiterHint : 0
; COMPUTE_PGM_RSRC2:SCRATCH_EN: 0
; COMPUTE_PGM_RSRC2:USER_SGPR: 6
; COMPUTE_PGM_RSRC2:TRAP_HANDLER: 0
; COMPUTE_PGM_RSRC2:TGID_X_EN: 1
; COMPUTE_PGM_RSRC2:TGID_Y_EN: 0
; COMPUTE_PGM_RSRC2:TGID_Z_EN: 0
; COMPUTE_PGM_RSRC2:TIDIG_COMP_CNT: 0
; COMPUTE_PGM_RSRC3_GFX90A:ACCUM_OFFSET: 2
; COMPUTE_PGM_RSRC3_GFX90A:TG_SPLIT: 0
	.section	.text._Z24warp_load_guarded_kernelILj1024ELj4ELj64ELN7rocprim17ROCPRIM_304000_NS16warp_load_methodE2EiEvPT3_S4_iS3_,"axG",@progbits,_Z24warp_load_guarded_kernelILj1024ELj4ELj64ELN7rocprim17ROCPRIM_304000_NS16warp_load_methodE2EiEvPT3_S4_iS3_,comdat
	.protected	_Z24warp_load_guarded_kernelILj1024ELj4ELj64ELN7rocprim17ROCPRIM_304000_NS16warp_load_methodE2EiEvPT3_S4_iS3_ ; -- Begin function _Z24warp_load_guarded_kernelILj1024ELj4ELj64ELN7rocprim17ROCPRIM_304000_NS16warp_load_methodE2EiEvPT3_S4_iS3_
	.globl	_Z24warp_load_guarded_kernelILj1024ELj4ELj64ELN7rocprim17ROCPRIM_304000_NS16warp_load_methodE2EiEvPT3_S4_iS3_
	.p2align	8
	.type	_Z24warp_load_guarded_kernelILj1024ELj4ELj64ELN7rocprim17ROCPRIM_304000_NS16warp_load_methodE2EiEvPT3_S4_iS3_,@function
_Z24warp_load_guarded_kernelILj1024ELj4ELj64ELN7rocprim17ROCPRIM_304000_NS16warp_load_methodE2EiEvPT3_S4_iS3_: ; @_Z24warp_load_guarded_kernelILj1024ELj4ELj64ELN7rocprim17ROCPRIM_304000_NS16warp_load_methodE2EiEvPT3_S4_iS3_
; %bb.0:
	s_load_dwordx4 s[0:3], s[4:5], 0x0
	s_load_dwordx2 s[8:9], s[4:5], 0x10
	v_lshlrev_b32_e32 v1, 4, v0
	v_and_b32_e32 v1, 0x3c00, v1
	s_waitcnt lgkmcnt(0)
	v_add_co_u32_e32 v3, vcc, s0, v1
	v_mbcnt_lo_u32_b32 v1, -1, 0
	v_mov_b32_e32 v2, s1
	v_mbcnt_hi_u32_b32 v4, -1, v1
	v_addc_co_u32_e32 v2, vcc, 0, v2, vcc
	v_lshlrev_b32_e32 v1, 2, v4
	v_lshlrev_b32_e32 v4, 4, v4
	s_mov_b32 s4, s9
	s_mov_b32 s5, s9
	v_add_co_u32_e32 v6, vcc, v3, v4
	s_mov_b32 s6, s9
	s_mov_b32 s7, s9
	v_addc_co_u32_e32 v7, vcc, 0, v2, vcc
	v_pk_mov_b32 v[2:3], s[4:5], s[4:5] op_sel:[0,1]
	v_cmp_gt_u32_e32 vcc, s8, v1
	v_pk_mov_b32 v[4:5], s[6:7], s[6:7] op_sel:[0,1]
	s_and_saveexec_b64 s[0:1], vcc
	s_cbranch_execz .LBB61_2
; %bb.1:
	global_load_dword v8, v[6:7], off
	v_pk_mov_b32 v[2:3], s[4:5], s[4:5] op_sel:[0,1]
	v_pk_mov_b32 v[4:5], s[6:7], s[6:7] op_sel:[0,1]
	s_waitcnt vmcnt(0)
	v_mov_b32_e32 v2, v8
.LBB61_2:
	s_or_b64 exec, exec, s[0:1]
	v_or_b32_e32 v8, 1, v1
	v_cmp_gt_u32_e32 vcc, s8, v8
	s_and_saveexec_b64 s[0:1], vcc
	s_cbranch_execz .LBB61_4
; %bb.3:
	global_load_dword v3, v[6:7], off offset:4
.LBB61_4:
	s_or_b64 exec, exec, s[0:1]
	v_or_b32_e32 v8, 2, v1
	v_cmp_gt_u32_e32 vcc, s8, v8
	s_and_saveexec_b64 s[0:1], vcc
	s_cbranch_execz .LBB61_6
; %bb.5:
	global_load_dword v4, v[6:7], off offset:8
.LBB61_6:
	s_or_b64 exec, exec, s[0:1]
	v_or_b32_e32 v1, 3, v1
	v_lshlrev_b32_e32 v0, 2, v0
	v_cmp_gt_u32_e32 vcc, s8, v1
	s_and_saveexec_b64 s[0:1], vcc
	s_cbranch_execz .LBB61_8
; %bb.7:
	global_load_dword v5, v[6:7], off offset:12
.LBB61_8:
	s_or_b64 exec, exec, s[0:1]
	v_lshlrev_b32_e32 v0, 2, v0
	s_waitcnt vmcnt(0)
	global_store_dwordx4 v0, v[2:5], s[2:3]
	s_endpgm
	.section	.rodata,"a",@progbits
	.p2align	6, 0x0
	.amdhsa_kernel _Z24warp_load_guarded_kernelILj1024ELj4ELj64ELN7rocprim17ROCPRIM_304000_NS16warp_load_methodE2EiEvPT3_S4_iS3_
		.amdhsa_group_segment_fixed_size 0
		.amdhsa_private_segment_fixed_size 0
		.amdhsa_kernarg_size 24
		.amdhsa_user_sgpr_count 6
		.amdhsa_user_sgpr_private_segment_buffer 1
		.amdhsa_user_sgpr_dispatch_ptr 0
		.amdhsa_user_sgpr_queue_ptr 0
		.amdhsa_user_sgpr_kernarg_segment_ptr 1
		.amdhsa_user_sgpr_dispatch_id 0
		.amdhsa_user_sgpr_flat_scratch_init 0
		.amdhsa_user_sgpr_kernarg_preload_length 0
		.amdhsa_user_sgpr_kernarg_preload_offset 0
		.amdhsa_user_sgpr_private_segment_size 0
		.amdhsa_uses_dynamic_stack 0
		.amdhsa_system_sgpr_private_segment_wavefront_offset 0
		.amdhsa_system_sgpr_workgroup_id_x 1
		.amdhsa_system_sgpr_workgroup_id_y 0
		.amdhsa_system_sgpr_workgroup_id_z 0
		.amdhsa_system_sgpr_workgroup_info 0
		.amdhsa_system_vgpr_workitem_id 0
		.amdhsa_next_free_vgpr 9
		.amdhsa_next_free_sgpr 10
		.amdhsa_accum_offset 12
		.amdhsa_reserve_vcc 1
		.amdhsa_reserve_flat_scratch 0
		.amdhsa_float_round_mode_32 0
		.amdhsa_float_round_mode_16_64 0
		.amdhsa_float_denorm_mode_32 3
		.amdhsa_float_denorm_mode_16_64 3
		.amdhsa_dx10_clamp 1
		.amdhsa_ieee_mode 1
		.amdhsa_fp16_overflow 0
		.amdhsa_tg_split 0
		.amdhsa_exception_fp_ieee_invalid_op 0
		.amdhsa_exception_fp_denorm_src 0
		.amdhsa_exception_fp_ieee_div_zero 0
		.amdhsa_exception_fp_ieee_overflow 0
		.amdhsa_exception_fp_ieee_underflow 0
		.amdhsa_exception_fp_ieee_inexact 0
		.amdhsa_exception_int_div_zero 0
	.end_amdhsa_kernel
	.section	.text._Z24warp_load_guarded_kernelILj1024ELj4ELj64ELN7rocprim17ROCPRIM_304000_NS16warp_load_methodE2EiEvPT3_S4_iS3_,"axG",@progbits,_Z24warp_load_guarded_kernelILj1024ELj4ELj64ELN7rocprim17ROCPRIM_304000_NS16warp_load_methodE2EiEvPT3_S4_iS3_,comdat
.Lfunc_end61:
	.size	_Z24warp_load_guarded_kernelILj1024ELj4ELj64ELN7rocprim17ROCPRIM_304000_NS16warp_load_methodE2EiEvPT3_S4_iS3_, .Lfunc_end61-_Z24warp_load_guarded_kernelILj1024ELj4ELj64ELN7rocprim17ROCPRIM_304000_NS16warp_load_methodE2EiEvPT3_S4_iS3_
                                        ; -- End function
	.section	.AMDGPU.csdata,"",@progbits
; Kernel info:
; codeLenInByte = 264
; NumSgprs: 14
; NumVgprs: 9
; NumAgprs: 0
; TotalNumVgprs: 9
; ScratchSize: 0
; MemoryBound: 0
; FloatMode: 240
; IeeeMode: 1
; LDSByteSize: 0 bytes/workgroup (compile time only)
; SGPRBlocks: 1
; VGPRBlocks: 1
; NumSGPRsForWavesPerEU: 14
; NumVGPRsForWavesPerEU: 9
; AccumOffset: 12
; Occupancy: 8
; WaveLimiterHint : 0
; COMPUTE_PGM_RSRC2:SCRATCH_EN: 0
; COMPUTE_PGM_RSRC2:USER_SGPR: 6
; COMPUTE_PGM_RSRC2:TRAP_HANDLER: 0
; COMPUTE_PGM_RSRC2:TGID_X_EN: 1
; COMPUTE_PGM_RSRC2:TGID_Y_EN: 0
; COMPUTE_PGM_RSRC2:TGID_Z_EN: 0
; COMPUTE_PGM_RSRC2:TIDIG_COMP_CNT: 0
; COMPUTE_PGM_RSRC3_GFX90A:ACCUM_OFFSET: 2
; COMPUTE_PGM_RSRC3_GFX90A:TG_SPLIT: 0
	.section	.text._Z24warp_load_guarded_kernelILj1024ELj4ELj64ELN7rocprim17ROCPRIM_304000_NS16warp_load_methodE1EiEvPT3_S4_iS3_,"axG",@progbits,_Z24warp_load_guarded_kernelILj1024ELj4ELj64ELN7rocprim17ROCPRIM_304000_NS16warp_load_methodE1EiEvPT3_S4_iS3_,comdat
	.protected	_Z24warp_load_guarded_kernelILj1024ELj4ELj64ELN7rocprim17ROCPRIM_304000_NS16warp_load_methodE1EiEvPT3_S4_iS3_ ; -- Begin function _Z24warp_load_guarded_kernelILj1024ELj4ELj64ELN7rocprim17ROCPRIM_304000_NS16warp_load_methodE1EiEvPT3_S4_iS3_
	.globl	_Z24warp_load_guarded_kernelILj1024ELj4ELj64ELN7rocprim17ROCPRIM_304000_NS16warp_load_methodE1EiEvPT3_S4_iS3_
	.p2align	8
	.type	_Z24warp_load_guarded_kernelILj1024ELj4ELj64ELN7rocprim17ROCPRIM_304000_NS16warp_load_methodE1EiEvPT3_S4_iS3_,@function
_Z24warp_load_guarded_kernelILj1024ELj4ELj64ELN7rocprim17ROCPRIM_304000_NS16warp_load_methodE1EiEvPT3_S4_iS3_: ; @_Z24warp_load_guarded_kernelILj1024ELj4ELj64ELN7rocprim17ROCPRIM_304000_NS16warp_load_methodE1EiEvPT3_S4_iS3_
; %bb.0:
	s_load_dwordx4 s[0:3], s[4:5], 0x0
	s_load_dwordx2 s[8:9], s[4:5], 0x10
	v_lshlrev_b32_e32 v1, 4, v0
	v_and_b32_e32 v1, 0x3c00, v1
	v_mbcnt_lo_u32_b32 v3, -1, 0
	s_waitcnt lgkmcnt(0)
	v_mov_b32_e32 v2, s1
	v_add_co_u32_e32 v1, vcc, s0, v1
	v_mbcnt_hi_u32_b32 v3, -1, v3
	v_addc_co_u32_e32 v2, vcc, 0, v2, vcc
	v_lshlrev_b32_e32 v4, 2, v3
	v_and_b32_e32 v5, 0x100, v4
	v_add_co_u32_e32 v1, vcc, v1, v4
	v_addc_co_u32_e32 v2, vcc, 0, v2, vcc
	v_lshlrev_b32_e32 v4, 2, v5
	s_mov_b32 s4, s9
	s_mov_b32 s5, s9
	v_add_co_u32_e32 v6, vcc, v1, v4
	s_mov_b32 s6, s9
	s_mov_b32 s7, s9
	v_addc_co_u32_e32 v7, vcc, 0, v2, vcc
	v_or_b32_e32 v1, v5, v3
	v_pk_mov_b32 v[2:3], s[4:5], s[4:5] op_sel:[0,1]
	v_cmp_gt_u32_e32 vcc, s8, v1
	v_pk_mov_b32 v[4:5], s[6:7], s[6:7] op_sel:[0,1]
	s_and_saveexec_b64 s[0:1], vcc
	s_cbranch_execz .LBB62_2
; %bb.1:
	global_load_dword v8, v[6:7], off
	v_pk_mov_b32 v[2:3], s[4:5], s[4:5] op_sel:[0,1]
	v_pk_mov_b32 v[4:5], s[6:7], s[6:7] op_sel:[0,1]
	s_waitcnt vmcnt(0)
	v_mov_b32_e32 v2, v8
.LBB62_2:
	s_or_b64 exec, exec, s[0:1]
	v_add_u32_e32 v8, 64, v1
	v_cmp_gt_u32_e32 vcc, s8, v8
	s_and_saveexec_b64 s[0:1], vcc
	s_cbranch_execz .LBB62_4
; %bb.3:
	global_load_dword v3, v[6:7], off offset:256
.LBB62_4:
	s_or_b64 exec, exec, s[0:1]
	v_add_u32_e32 v8, 0x80, v1
	v_cmp_gt_u32_e32 vcc, s8, v8
	s_and_saveexec_b64 s[0:1], vcc
	s_cbranch_execz .LBB62_6
; %bb.5:
	global_load_dword v4, v[6:7], off offset:512
.LBB62_6:
	s_or_b64 exec, exec, s[0:1]
	v_add_u32_e32 v1, 0xc0, v1
	v_lshlrev_b32_e32 v0, 2, v0
	v_cmp_gt_u32_e32 vcc, s8, v1
	s_and_saveexec_b64 s[0:1], vcc
	s_cbranch_execz .LBB62_8
; %bb.7:
	global_load_dword v5, v[6:7], off offset:768
.LBB62_8:
	s_or_b64 exec, exec, s[0:1]
	v_lshlrev_b32_e32 v0, 2, v0
	s_waitcnt vmcnt(0)
	global_store_dwordx4 v0, v[2:5], s[2:3]
	s_endpgm
	.section	.rodata,"a",@progbits
	.p2align	6, 0x0
	.amdhsa_kernel _Z24warp_load_guarded_kernelILj1024ELj4ELj64ELN7rocprim17ROCPRIM_304000_NS16warp_load_methodE1EiEvPT3_S4_iS3_
		.amdhsa_group_segment_fixed_size 0
		.amdhsa_private_segment_fixed_size 0
		.amdhsa_kernarg_size 24
		.amdhsa_user_sgpr_count 6
		.amdhsa_user_sgpr_private_segment_buffer 1
		.amdhsa_user_sgpr_dispatch_ptr 0
		.amdhsa_user_sgpr_queue_ptr 0
		.amdhsa_user_sgpr_kernarg_segment_ptr 1
		.amdhsa_user_sgpr_dispatch_id 0
		.amdhsa_user_sgpr_flat_scratch_init 0
		.amdhsa_user_sgpr_kernarg_preload_length 0
		.amdhsa_user_sgpr_kernarg_preload_offset 0
		.amdhsa_user_sgpr_private_segment_size 0
		.amdhsa_uses_dynamic_stack 0
		.amdhsa_system_sgpr_private_segment_wavefront_offset 0
		.amdhsa_system_sgpr_workgroup_id_x 1
		.amdhsa_system_sgpr_workgroup_id_y 0
		.amdhsa_system_sgpr_workgroup_id_z 0
		.amdhsa_system_sgpr_workgroup_info 0
		.amdhsa_system_vgpr_workitem_id 0
		.amdhsa_next_free_vgpr 9
		.amdhsa_next_free_sgpr 10
		.amdhsa_accum_offset 12
		.amdhsa_reserve_vcc 1
		.amdhsa_reserve_flat_scratch 0
		.amdhsa_float_round_mode_32 0
		.amdhsa_float_round_mode_16_64 0
		.amdhsa_float_denorm_mode_32 3
		.amdhsa_float_denorm_mode_16_64 3
		.amdhsa_dx10_clamp 1
		.amdhsa_ieee_mode 1
		.amdhsa_fp16_overflow 0
		.amdhsa_tg_split 0
		.amdhsa_exception_fp_ieee_invalid_op 0
		.amdhsa_exception_fp_denorm_src 0
		.amdhsa_exception_fp_ieee_div_zero 0
		.amdhsa_exception_fp_ieee_overflow 0
		.amdhsa_exception_fp_ieee_underflow 0
		.amdhsa_exception_fp_ieee_inexact 0
		.amdhsa_exception_int_div_zero 0
	.end_amdhsa_kernel
	.section	.text._Z24warp_load_guarded_kernelILj1024ELj4ELj64ELN7rocprim17ROCPRIM_304000_NS16warp_load_methodE1EiEvPT3_S4_iS3_,"axG",@progbits,_Z24warp_load_guarded_kernelILj1024ELj4ELj64ELN7rocprim17ROCPRIM_304000_NS16warp_load_methodE1EiEvPT3_S4_iS3_,comdat
.Lfunc_end62:
	.size	_Z24warp_load_guarded_kernelILj1024ELj4ELj64ELN7rocprim17ROCPRIM_304000_NS16warp_load_methodE1EiEvPT3_S4_iS3_, .Lfunc_end62-_Z24warp_load_guarded_kernelILj1024ELj4ELj64ELN7rocprim17ROCPRIM_304000_NS16warp_load_methodE1EiEvPT3_S4_iS3_
                                        ; -- End function
	.section	.AMDGPU.csdata,"",@progbits
; Kernel info:
; codeLenInByte = 292
; NumSgprs: 14
; NumVgprs: 9
; NumAgprs: 0
; TotalNumVgprs: 9
; ScratchSize: 0
; MemoryBound: 0
; FloatMode: 240
; IeeeMode: 1
; LDSByteSize: 0 bytes/workgroup (compile time only)
; SGPRBlocks: 1
; VGPRBlocks: 1
; NumSGPRsForWavesPerEU: 14
; NumVGPRsForWavesPerEU: 9
; AccumOffset: 12
; Occupancy: 8
; WaveLimiterHint : 0
; COMPUTE_PGM_RSRC2:SCRATCH_EN: 0
; COMPUTE_PGM_RSRC2:USER_SGPR: 6
; COMPUTE_PGM_RSRC2:TRAP_HANDLER: 0
; COMPUTE_PGM_RSRC2:TGID_X_EN: 1
; COMPUTE_PGM_RSRC2:TGID_Y_EN: 0
; COMPUTE_PGM_RSRC2:TGID_Z_EN: 0
; COMPUTE_PGM_RSRC2:TIDIG_COMP_CNT: 0
; COMPUTE_PGM_RSRC3_GFX90A:ACCUM_OFFSET: 2
; COMPUTE_PGM_RSRC3_GFX90A:TG_SPLIT: 0
	.section	.text._Z24warp_load_guarded_kernelILj1024ELj4ELj64ELN7rocprim17ROCPRIM_304000_NS16warp_load_methodE0EiEvPT3_S4_iS3_,"axG",@progbits,_Z24warp_load_guarded_kernelILj1024ELj4ELj64ELN7rocprim17ROCPRIM_304000_NS16warp_load_methodE0EiEvPT3_S4_iS3_,comdat
	.protected	_Z24warp_load_guarded_kernelILj1024ELj4ELj64ELN7rocprim17ROCPRIM_304000_NS16warp_load_methodE0EiEvPT3_S4_iS3_ ; -- Begin function _Z24warp_load_guarded_kernelILj1024ELj4ELj64ELN7rocprim17ROCPRIM_304000_NS16warp_load_methodE0EiEvPT3_S4_iS3_
	.globl	_Z24warp_load_guarded_kernelILj1024ELj4ELj64ELN7rocprim17ROCPRIM_304000_NS16warp_load_methodE0EiEvPT3_S4_iS3_
	.p2align	8
	.type	_Z24warp_load_guarded_kernelILj1024ELj4ELj64ELN7rocprim17ROCPRIM_304000_NS16warp_load_methodE0EiEvPT3_S4_iS3_,@function
_Z24warp_load_guarded_kernelILj1024ELj4ELj64ELN7rocprim17ROCPRIM_304000_NS16warp_load_methodE0EiEvPT3_S4_iS3_: ; @_Z24warp_load_guarded_kernelILj1024ELj4ELj64ELN7rocprim17ROCPRIM_304000_NS16warp_load_methodE0EiEvPT3_S4_iS3_
; %bb.0:
	s_load_dwordx4 s[0:3], s[4:5], 0x0
	s_load_dwordx2 s[8:9], s[4:5], 0x10
	v_lshlrev_b32_e32 v1, 4, v0
	v_and_b32_e32 v1, 0x3c00, v1
	s_waitcnt lgkmcnt(0)
	v_add_co_u32_e32 v3, vcc, s0, v1
	v_mbcnt_lo_u32_b32 v1, -1, 0
	v_mov_b32_e32 v2, s1
	v_mbcnt_hi_u32_b32 v4, -1, v1
	v_addc_co_u32_e32 v2, vcc, 0, v2, vcc
	v_lshlrev_b32_e32 v1, 2, v4
	v_lshlrev_b32_e32 v4, 4, v4
	s_mov_b32 s4, s9
	s_mov_b32 s5, s9
	v_add_co_u32_e32 v6, vcc, v3, v4
	s_mov_b32 s6, s9
	s_mov_b32 s7, s9
	v_addc_co_u32_e32 v7, vcc, 0, v2, vcc
	v_pk_mov_b32 v[2:3], s[4:5], s[4:5] op_sel:[0,1]
	v_cmp_gt_u32_e32 vcc, s8, v1
	v_pk_mov_b32 v[4:5], s[6:7], s[6:7] op_sel:[0,1]
	s_and_saveexec_b64 s[0:1], vcc
	s_cbranch_execz .LBB63_2
; %bb.1:
	global_load_dword v8, v[6:7], off
	v_pk_mov_b32 v[2:3], s[4:5], s[4:5] op_sel:[0,1]
	v_pk_mov_b32 v[4:5], s[6:7], s[6:7] op_sel:[0,1]
	s_waitcnt vmcnt(0)
	v_mov_b32_e32 v2, v8
.LBB63_2:
	s_or_b64 exec, exec, s[0:1]
	v_or_b32_e32 v8, 1, v1
	v_cmp_gt_u32_e32 vcc, s8, v8
	s_and_saveexec_b64 s[0:1], vcc
	s_cbranch_execz .LBB63_4
; %bb.3:
	global_load_dword v3, v[6:7], off offset:4
.LBB63_4:
	s_or_b64 exec, exec, s[0:1]
	v_or_b32_e32 v8, 2, v1
	v_cmp_gt_u32_e32 vcc, s8, v8
	s_and_saveexec_b64 s[0:1], vcc
	s_cbranch_execz .LBB63_6
; %bb.5:
	global_load_dword v4, v[6:7], off offset:8
.LBB63_6:
	s_or_b64 exec, exec, s[0:1]
	v_or_b32_e32 v1, 3, v1
	v_lshlrev_b32_e32 v0, 2, v0
	v_cmp_gt_u32_e32 vcc, s8, v1
	s_and_saveexec_b64 s[0:1], vcc
	s_cbranch_execz .LBB63_8
; %bb.7:
	global_load_dword v5, v[6:7], off offset:12
.LBB63_8:
	s_or_b64 exec, exec, s[0:1]
	v_lshlrev_b32_e32 v0, 2, v0
	s_waitcnt vmcnt(0)
	global_store_dwordx4 v0, v[2:5], s[2:3]
	s_endpgm
	.section	.rodata,"a",@progbits
	.p2align	6, 0x0
	.amdhsa_kernel _Z24warp_load_guarded_kernelILj1024ELj4ELj64ELN7rocprim17ROCPRIM_304000_NS16warp_load_methodE0EiEvPT3_S4_iS3_
		.amdhsa_group_segment_fixed_size 0
		.amdhsa_private_segment_fixed_size 0
		.amdhsa_kernarg_size 24
		.amdhsa_user_sgpr_count 6
		.amdhsa_user_sgpr_private_segment_buffer 1
		.amdhsa_user_sgpr_dispatch_ptr 0
		.amdhsa_user_sgpr_queue_ptr 0
		.amdhsa_user_sgpr_kernarg_segment_ptr 1
		.amdhsa_user_sgpr_dispatch_id 0
		.amdhsa_user_sgpr_flat_scratch_init 0
		.amdhsa_user_sgpr_kernarg_preload_length 0
		.amdhsa_user_sgpr_kernarg_preload_offset 0
		.amdhsa_user_sgpr_private_segment_size 0
		.amdhsa_uses_dynamic_stack 0
		.amdhsa_system_sgpr_private_segment_wavefront_offset 0
		.amdhsa_system_sgpr_workgroup_id_x 1
		.amdhsa_system_sgpr_workgroup_id_y 0
		.amdhsa_system_sgpr_workgroup_id_z 0
		.amdhsa_system_sgpr_workgroup_info 0
		.amdhsa_system_vgpr_workitem_id 0
		.amdhsa_next_free_vgpr 9
		.amdhsa_next_free_sgpr 10
		.amdhsa_accum_offset 12
		.amdhsa_reserve_vcc 1
		.amdhsa_reserve_flat_scratch 0
		.amdhsa_float_round_mode_32 0
		.amdhsa_float_round_mode_16_64 0
		.amdhsa_float_denorm_mode_32 3
		.amdhsa_float_denorm_mode_16_64 3
		.amdhsa_dx10_clamp 1
		.amdhsa_ieee_mode 1
		.amdhsa_fp16_overflow 0
		.amdhsa_tg_split 0
		.amdhsa_exception_fp_ieee_invalid_op 0
		.amdhsa_exception_fp_denorm_src 0
		.amdhsa_exception_fp_ieee_div_zero 0
		.amdhsa_exception_fp_ieee_overflow 0
		.amdhsa_exception_fp_ieee_underflow 0
		.amdhsa_exception_fp_ieee_inexact 0
		.amdhsa_exception_int_div_zero 0
	.end_amdhsa_kernel
	.section	.text._Z24warp_load_guarded_kernelILj1024ELj4ELj64ELN7rocprim17ROCPRIM_304000_NS16warp_load_methodE0EiEvPT3_S4_iS3_,"axG",@progbits,_Z24warp_load_guarded_kernelILj1024ELj4ELj64ELN7rocprim17ROCPRIM_304000_NS16warp_load_methodE0EiEvPT3_S4_iS3_,comdat
.Lfunc_end63:
	.size	_Z24warp_load_guarded_kernelILj1024ELj4ELj64ELN7rocprim17ROCPRIM_304000_NS16warp_load_methodE0EiEvPT3_S4_iS3_, .Lfunc_end63-_Z24warp_load_guarded_kernelILj1024ELj4ELj64ELN7rocprim17ROCPRIM_304000_NS16warp_load_methodE0EiEvPT3_S4_iS3_
                                        ; -- End function
	.section	.AMDGPU.csdata,"",@progbits
; Kernel info:
; codeLenInByte = 264
; NumSgprs: 14
; NumVgprs: 9
; NumAgprs: 0
; TotalNumVgprs: 9
; ScratchSize: 0
; MemoryBound: 0
; FloatMode: 240
; IeeeMode: 1
; LDSByteSize: 0 bytes/workgroup (compile time only)
; SGPRBlocks: 1
; VGPRBlocks: 1
; NumSGPRsForWavesPerEU: 14
; NumVGPRsForWavesPerEU: 9
; AccumOffset: 12
; Occupancy: 8
; WaveLimiterHint : 0
; COMPUTE_PGM_RSRC2:SCRATCH_EN: 0
; COMPUTE_PGM_RSRC2:USER_SGPR: 6
; COMPUTE_PGM_RSRC2:TRAP_HANDLER: 0
; COMPUTE_PGM_RSRC2:TGID_X_EN: 1
; COMPUTE_PGM_RSRC2:TGID_Y_EN: 0
; COMPUTE_PGM_RSRC2:TGID_Z_EN: 0
; COMPUTE_PGM_RSRC2:TIDIG_COMP_CNT: 0
; COMPUTE_PGM_RSRC3_GFX90A:ACCUM_OFFSET: 2
; COMPUTE_PGM_RSRC3_GFX90A:TG_SPLIT: 0
	.section	.text._Z24warp_load_guarded_kernelILj1024ELj5ELj32ELN7rocprim17ROCPRIM_304000_NS16warp_load_methodE3EiEvPT3_S4_iS3_,"axG",@progbits,_Z24warp_load_guarded_kernelILj1024ELj5ELj32ELN7rocprim17ROCPRIM_304000_NS16warp_load_methodE3EiEvPT3_S4_iS3_,comdat
	.protected	_Z24warp_load_guarded_kernelILj1024ELj5ELj32ELN7rocprim17ROCPRIM_304000_NS16warp_load_methodE3EiEvPT3_S4_iS3_ ; -- Begin function _Z24warp_load_guarded_kernelILj1024ELj5ELj32ELN7rocprim17ROCPRIM_304000_NS16warp_load_methodE3EiEvPT3_S4_iS3_
	.globl	_Z24warp_load_guarded_kernelILj1024ELj5ELj32ELN7rocprim17ROCPRIM_304000_NS16warp_load_methodE3EiEvPT3_S4_iS3_
	.p2align	8
	.type	_Z24warp_load_guarded_kernelILj1024ELj5ELj32ELN7rocprim17ROCPRIM_304000_NS16warp_load_methodE3EiEvPT3_S4_iS3_,@function
_Z24warp_load_guarded_kernelILj1024ELj5ELj32ELN7rocprim17ROCPRIM_304000_NS16warp_load_methodE3EiEvPT3_S4_iS3_: ; @_Z24warp_load_guarded_kernelILj1024ELj5ELj32ELN7rocprim17ROCPRIM_304000_NS16warp_load_methodE3EiEvPT3_S4_iS3_
; %bb.0:
	s_load_dwordx4 s[8:11], s[4:5], 0x0
	s_load_dwordx2 s[6:7], s[4:5], 0x10
	v_lshrrev_b32_e32 v1, 5, v0
	v_mul_u32_u24_e32 v2, 0xa0, v1
	v_mbcnt_lo_u32_b32 v4, -1, 0
	v_lshlrev_b32_e32 v2, 2, v2
	v_mbcnt_hi_u32_b32 v4, -1, v4
	s_waitcnt lgkmcnt(0)
	v_mov_b32_e32 v3, s9
	v_add_co_u32_e32 v2, vcc, s8, v2
	v_and_b32_e32 v7, 31, v4
	v_addc_co_u32_e32 v3, vcc, 0, v3, vcc
	v_lshlrev_b32_e32 v4, 2, v7
	s_mov_b32 s4, s7
	v_add_co_u32_e32 v8, vcc, v2, v4
	s_mov_b32 s0, s7
	s_mov_b32 s1, s7
	;; [unrolled: 1-line block ×4, first 2 shown]
	v_addc_co_u32_e32 v9, vcc, 0, v3, vcc
	v_mov_b32_e32 v6, s4
	v_cmp_gt_u32_e32 vcc, s6, v7
	v_mov_b32_e32 v5, s3
	v_mov_b32_e32 v4, s2
	;; [unrolled: 1-line block ×5, first 2 shown]
	s_and_saveexec_b64 s[8:9], vcc
	s_cbranch_execz .LBB64_2
; %bb.1:
	global_load_dword v10, v[8:9], off
	v_mov_b32_e32 v6, s4
	v_mov_b32_e32 v5, s3
	;; [unrolled: 1-line block ×5, first 2 shown]
                                        ; kill: def $vgpr2 killed $vgpr10 killed $exec
.LBB64_2:
	s_or_b64 exec, exec, s[8:9]
	v_or_b32_e32 v2, 32, v7
	v_cmp_gt_u32_e32 vcc, s6, v2
	s_and_saveexec_b64 s[0:1], vcc
	s_cbranch_execz .LBB64_4
; %bb.3:
	global_load_dword v3, v[8:9], off offset:128
.LBB64_4:
	s_or_b64 exec, exec, s[0:1]
	v_or_b32_e32 v2, 64, v7
	v_cmp_gt_u32_e32 vcc, s6, v2
	s_and_saveexec_b64 s[0:1], vcc
	s_cbranch_execz .LBB64_6
; %bb.5:
	global_load_dword v4, v[8:9], off offset:256
.LBB64_6:
	;; [unrolled: 8-line block ×4, first 2 shown]
	s_or_b64 exec, exec, s[0:1]
	v_mul_u32_u24_e32 v1, 0x280, v1
	v_lshl_or_b32 v1, v7, 2, v1
	s_waitcnt vmcnt(0)
	ds_write2_b32 v1, v10, v3 offset1:32
	ds_write2_b32 v1, v4, v5 offset0:64 offset1:96
	ds_write_b32 v1, v6 offset:512
	v_lshl_add_u32 v1, v7, 4, v1
	; wave barrier
	ds_read2_b32 v[2:3], v1 offset1:1
	ds_read2_b32 v[4:5], v1 offset0:2 offset1:3
	ds_read_b32 v1, v1 offset:16
	v_mul_u32_u24_e32 v0, 5, v0
	v_lshlrev_b32_e32 v0, 2, v0
	s_waitcnt lgkmcnt(1)
	global_store_dwordx4 v0, v[2:5], s[10:11]
	s_waitcnt lgkmcnt(0)
	global_store_dword v0, v1, s[10:11] offset:16
	s_endpgm
	.section	.rodata,"a",@progbits
	.p2align	6, 0x0
	.amdhsa_kernel _Z24warp_load_guarded_kernelILj1024ELj5ELj32ELN7rocprim17ROCPRIM_304000_NS16warp_load_methodE3EiEvPT3_S4_iS3_
		.amdhsa_group_segment_fixed_size 20480
		.amdhsa_private_segment_fixed_size 0
		.amdhsa_kernarg_size 24
		.amdhsa_user_sgpr_count 6
		.amdhsa_user_sgpr_private_segment_buffer 1
		.amdhsa_user_sgpr_dispatch_ptr 0
		.amdhsa_user_sgpr_queue_ptr 0
		.amdhsa_user_sgpr_kernarg_segment_ptr 1
		.amdhsa_user_sgpr_dispatch_id 0
		.amdhsa_user_sgpr_flat_scratch_init 0
		.amdhsa_user_sgpr_kernarg_preload_length 0
		.amdhsa_user_sgpr_kernarg_preload_offset 0
		.amdhsa_user_sgpr_private_segment_size 0
		.amdhsa_uses_dynamic_stack 0
		.amdhsa_system_sgpr_private_segment_wavefront_offset 0
		.amdhsa_system_sgpr_workgroup_id_x 1
		.amdhsa_system_sgpr_workgroup_id_y 0
		.amdhsa_system_sgpr_workgroup_id_z 0
		.amdhsa_system_sgpr_workgroup_info 0
		.amdhsa_system_vgpr_workitem_id 0
		.amdhsa_next_free_vgpr 11
		.amdhsa_next_free_sgpr 12
		.amdhsa_accum_offset 12
		.amdhsa_reserve_vcc 1
		.amdhsa_reserve_flat_scratch 0
		.amdhsa_float_round_mode_32 0
		.amdhsa_float_round_mode_16_64 0
		.amdhsa_float_denorm_mode_32 3
		.amdhsa_float_denorm_mode_16_64 3
		.amdhsa_dx10_clamp 1
		.amdhsa_ieee_mode 1
		.amdhsa_fp16_overflow 0
		.amdhsa_tg_split 0
		.amdhsa_exception_fp_ieee_invalid_op 0
		.amdhsa_exception_fp_denorm_src 0
		.amdhsa_exception_fp_ieee_div_zero 0
		.amdhsa_exception_fp_ieee_overflow 0
		.amdhsa_exception_fp_ieee_underflow 0
		.amdhsa_exception_fp_ieee_inexact 0
		.amdhsa_exception_int_div_zero 0
	.end_amdhsa_kernel
	.section	.text._Z24warp_load_guarded_kernelILj1024ELj5ELj32ELN7rocprim17ROCPRIM_304000_NS16warp_load_methodE3EiEvPT3_S4_iS3_,"axG",@progbits,_Z24warp_load_guarded_kernelILj1024ELj5ELj32ELN7rocprim17ROCPRIM_304000_NS16warp_load_methodE3EiEvPT3_S4_iS3_,comdat
.Lfunc_end64:
	.size	_Z24warp_load_guarded_kernelILj1024ELj5ELj32ELN7rocprim17ROCPRIM_304000_NS16warp_load_methodE3EiEvPT3_S4_iS3_, .Lfunc_end64-_Z24warp_load_guarded_kernelILj1024ELj5ELj32ELN7rocprim17ROCPRIM_304000_NS16warp_load_methodE3EiEvPT3_S4_iS3_
                                        ; -- End function
	.section	.AMDGPU.csdata,"",@progbits
; Kernel info:
; codeLenInByte = 400
; NumSgprs: 16
; NumVgprs: 11
; NumAgprs: 0
; TotalNumVgprs: 11
; ScratchSize: 0
; MemoryBound: 0
; FloatMode: 240
; IeeeMode: 1
; LDSByteSize: 20480 bytes/workgroup (compile time only)
; SGPRBlocks: 1
; VGPRBlocks: 1
; NumSGPRsForWavesPerEU: 16
; NumVGPRsForWavesPerEU: 11
; AccumOffset: 12
; Occupancy: 8
; WaveLimiterHint : 0
; COMPUTE_PGM_RSRC2:SCRATCH_EN: 0
; COMPUTE_PGM_RSRC2:USER_SGPR: 6
; COMPUTE_PGM_RSRC2:TRAP_HANDLER: 0
; COMPUTE_PGM_RSRC2:TGID_X_EN: 1
; COMPUTE_PGM_RSRC2:TGID_Y_EN: 0
; COMPUTE_PGM_RSRC2:TGID_Z_EN: 0
; COMPUTE_PGM_RSRC2:TIDIG_COMP_CNT: 0
; COMPUTE_PGM_RSRC3_GFX90A:ACCUM_OFFSET: 2
; COMPUTE_PGM_RSRC3_GFX90A:TG_SPLIT: 0
	.section	.text._Z24warp_load_guarded_kernelILj1024ELj5ELj32ELN7rocprim17ROCPRIM_304000_NS16warp_load_methodE2EiEvPT3_S4_iS3_,"axG",@progbits,_Z24warp_load_guarded_kernelILj1024ELj5ELj32ELN7rocprim17ROCPRIM_304000_NS16warp_load_methodE2EiEvPT3_S4_iS3_,comdat
	.protected	_Z24warp_load_guarded_kernelILj1024ELj5ELj32ELN7rocprim17ROCPRIM_304000_NS16warp_load_methodE2EiEvPT3_S4_iS3_ ; -- Begin function _Z24warp_load_guarded_kernelILj1024ELj5ELj32ELN7rocprim17ROCPRIM_304000_NS16warp_load_methodE2EiEvPT3_S4_iS3_
	.globl	_Z24warp_load_guarded_kernelILj1024ELj5ELj32ELN7rocprim17ROCPRIM_304000_NS16warp_load_methodE2EiEvPT3_S4_iS3_
	.p2align	8
	.type	_Z24warp_load_guarded_kernelILj1024ELj5ELj32ELN7rocprim17ROCPRIM_304000_NS16warp_load_methodE2EiEvPT3_S4_iS3_,@function
_Z24warp_load_guarded_kernelILj1024ELj5ELj32ELN7rocprim17ROCPRIM_304000_NS16warp_load_methodE2EiEvPT3_S4_iS3_: ; @_Z24warp_load_guarded_kernelILj1024ELj5ELj32ELN7rocprim17ROCPRIM_304000_NS16warp_load_methodE2EiEvPT3_S4_iS3_
; %bb.0:
	s_load_dwordx4 s[8:11], s[4:5], 0x0
	s_load_dwordx2 s[6:7], s[4:5], 0x10
	v_lshrrev_b32_e32 v1, 5, v0
	v_mul_u32_u24_e32 v1, 0xa0, v1
	v_lshlrev_b32_e32 v1, 2, v1
	s_waitcnt lgkmcnt(0)
	v_add_co_u32_e32 v3, vcc, s8, v1
	v_mbcnt_lo_u32_b32 v1, -1, 0
	v_mbcnt_hi_u32_b32 v1, -1, v1
	v_and_b32_e32 v1, 31, v1
	v_mov_b32_e32 v2, s9
	v_mul_u32_u24_e32 v1, 5, v1
	v_addc_co_u32_e32 v2, vcc, 0, v2, vcc
	v_lshlrev_b32_e32 v4, 2, v1
	s_mov_b32 s4, s7
	v_add_co_u32_e32 v8, vcc, v3, v4
	s_mov_b32 s0, s7
	s_mov_b32 s1, s7
	;; [unrolled: 1-line block ×4, first 2 shown]
	v_addc_co_u32_e32 v9, vcc, 0, v2, vcc
	v_mov_b32_e32 v6, s4
	v_cmp_gt_u32_e32 vcc, s6, v1
	v_mov_b32_e32 v5, s3
	v_mov_b32_e32 v4, s2
	;; [unrolled: 1-line block ×4, first 2 shown]
	s_and_saveexec_b64 s[8:9], vcc
	s_cbranch_execz .LBB65_2
; %bb.1:
	global_load_dword v7, v[8:9], off
	v_mov_b32_e32 v6, s4
	v_mov_b32_e32 v2, s0
	v_mov_b32_e32 v5, s3
	v_mov_b32_e32 v4, s2
	v_mov_b32_e32 v3, s1
	s_waitcnt vmcnt(0)
	v_mov_b32_e32 v2, v7
.LBB65_2:
	s_or_b64 exec, exec, s[8:9]
	v_add_u32_e32 v7, 1, v1
	v_cmp_gt_u32_e32 vcc, s6, v7
	s_and_saveexec_b64 s[0:1], vcc
	s_cbranch_execz .LBB65_4
; %bb.3:
	global_load_dword v3, v[8:9], off offset:4
.LBB65_4:
	s_or_b64 exec, exec, s[0:1]
	v_add_u32_e32 v7, 2, v1
	v_cmp_gt_u32_e32 vcc, s6, v7
	s_and_saveexec_b64 s[0:1], vcc
	s_cbranch_execz .LBB65_6
; %bb.5:
	global_load_dword v4, v[8:9], off offset:8
.LBB65_6:
	;; [unrolled: 8-line block ×4, first 2 shown]
	s_or_b64 exec, exec, s[0:1]
	v_mul_u32_u24_e32 v0, 5, v0
	v_lshlrev_b32_e32 v0, 2, v0
	s_waitcnt vmcnt(0)
	global_store_dwordx4 v0, v[2:5], s[10:11]
	global_store_dword v0, v6, s[10:11] offset:16
	s_endpgm
	.section	.rodata,"a",@progbits
	.p2align	6, 0x0
	.amdhsa_kernel _Z24warp_load_guarded_kernelILj1024ELj5ELj32ELN7rocprim17ROCPRIM_304000_NS16warp_load_methodE2EiEvPT3_S4_iS3_
		.amdhsa_group_segment_fixed_size 0
		.amdhsa_private_segment_fixed_size 0
		.amdhsa_kernarg_size 24
		.amdhsa_user_sgpr_count 6
		.amdhsa_user_sgpr_private_segment_buffer 1
		.amdhsa_user_sgpr_dispatch_ptr 0
		.amdhsa_user_sgpr_queue_ptr 0
		.amdhsa_user_sgpr_kernarg_segment_ptr 1
		.amdhsa_user_sgpr_dispatch_id 0
		.amdhsa_user_sgpr_flat_scratch_init 0
		.amdhsa_user_sgpr_kernarg_preload_length 0
		.amdhsa_user_sgpr_kernarg_preload_offset 0
		.amdhsa_user_sgpr_private_segment_size 0
		.amdhsa_uses_dynamic_stack 0
		.amdhsa_system_sgpr_private_segment_wavefront_offset 0
		.amdhsa_system_sgpr_workgroup_id_x 1
		.amdhsa_system_sgpr_workgroup_id_y 0
		.amdhsa_system_sgpr_workgroup_id_z 0
		.amdhsa_system_sgpr_workgroup_info 0
		.amdhsa_system_vgpr_workitem_id 0
		.amdhsa_next_free_vgpr 10
		.amdhsa_next_free_sgpr 12
		.amdhsa_accum_offset 12
		.amdhsa_reserve_vcc 1
		.amdhsa_reserve_flat_scratch 0
		.amdhsa_float_round_mode_32 0
		.amdhsa_float_round_mode_16_64 0
		.amdhsa_float_denorm_mode_32 3
		.amdhsa_float_denorm_mode_16_64 3
		.amdhsa_dx10_clamp 1
		.amdhsa_ieee_mode 1
		.amdhsa_fp16_overflow 0
		.amdhsa_tg_split 0
		.amdhsa_exception_fp_ieee_invalid_op 0
		.amdhsa_exception_fp_denorm_src 0
		.amdhsa_exception_fp_ieee_div_zero 0
		.amdhsa_exception_fp_ieee_overflow 0
		.amdhsa_exception_fp_ieee_underflow 0
		.amdhsa_exception_fp_ieee_inexact 0
		.amdhsa_exception_int_div_zero 0
	.end_amdhsa_kernel
	.section	.text._Z24warp_load_guarded_kernelILj1024ELj5ELj32ELN7rocprim17ROCPRIM_304000_NS16warp_load_methodE2EiEvPT3_S4_iS3_,"axG",@progbits,_Z24warp_load_guarded_kernelILj1024ELj5ELj32ELN7rocprim17ROCPRIM_304000_NS16warp_load_methodE2EiEvPT3_S4_iS3_,comdat
.Lfunc_end65:
	.size	_Z24warp_load_guarded_kernelILj1024ELj5ELj32ELN7rocprim17ROCPRIM_304000_NS16warp_load_methodE2EiEvPT3_S4_iS3_, .Lfunc_end65-_Z24warp_load_guarded_kernelILj1024ELj5ELj32ELN7rocprim17ROCPRIM_304000_NS16warp_load_methodE2EiEvPT3_S4_iS3_
                                        ; -- End function
	.section	.AMDGPU.csdata,"",@progbits
; Kernel info:
; codeLenInByte = 320
; NumSgprs: 16
; NumVgprs: 10
; NumAgprs: 0
; TotalNumVgprs: 10
; ScratchSize: 0
; MemoryBound: 0
; FloatMode: 240
; IeeeMode: 1
; LDSByteSize: 0 bytes/workgroup (compile time only)
; SGPRBlocks: 1
; VGPRBlocks: 1
; NumSGPRsForWavesPerEU: 16
; NumVGPRsForWavesPerEU: 10
; AccumOffset: 12
; Occupancy: 8
; WaveLimiterHint : 0
; COMPUTE_PGM_RSRC2:SCRATCH_EN: 0
; COMPUTE_PGM_RSRC2:USER_SGPR: 6
; COMPUTE_PGM_RSRC2:TRAP_HANDLER: 0
; COMPUTE_PGM_RSRC2:TGID_X_EN: 1
; COMPUTE_PGM_RSRC2:TGID_Y_EN: 0
; COMPUTE_PGM_RSRC2:TGID_Z_EN: 0
; COMPUTE_PGM_RSRC2:TIDIG_COMP_CNT: 0
; COMPUTE_PGM_RSRC3_GFX90A:ACCUM_OFFSET: 2
; COMPUTE_PGM_RSRC3_GFX90A:TG_SPLIT: 0
	.section	.text._Z24warp_load_guarded_kernelILj1024ELj5ELj32ELN7rocprim17ROCPRIM_304000_NS16warp_load_methodE1EiEvPT3_S4_iS3_,"axG",@progbits,_Z24warp_load_guarded_kernelILj1024ELj5ELj32ELN7rocprim17ROCPRIM_304000_NS16warp_load_methodE1EiEvPT3_S4_iS3_,comdat
	.protected	_Z24warp_load_guarded_kernelILj1024ELj5ELj32ELN7rocprim17ROCPRIM_304000_NS16warp_load_methodE1EiEvPT3_S4_iS3_ ; -- Begin function _Z24warp_load_guarded_kernelILj1024ELj5ELj32ELN7rocprim17ROCPRIM_304000_NS16warp_load_methodE1EiEvPT3_S4_iS3_
	.globl	_Z24warp_load_guarded_kernelILj1024ELj5ELj32ELN7rocprim17ROCPRIM_304000_NS16warp_load_methodE1EiEvPT3_S4_iS3_
	.p2align	8
	.type	_Z24warp_load_guarded_kernelILj1024ELj5ELj32ELN7rocprim17ROCPRIM_304000_NS16warp_load_methodE1EiEvPT3_S4_iS3_,@function
_Z24warp_load_guarded_kernelILj1024ELj5ELj32ELN7rocprim17ROCPRIM_304000_NS16warp_load_methodE1EiEvPT3_S4_iS3_: ; @_Z24warp_load_guarded_kernelILj1024ELj5ELj32ELN7rocprim17ROCPRIM_304000_NS16warp_load_methodE1EiEvPT3_S4_iS3_
; %bb.0:
	s_load_dwordx4 s[8:11], s[4:5], 0x0
	s_load_dwordx2 s[6:7], s[4:5], 0x10
	v_lshrrev_b32_e32 v1, 5, v0
	v_mul_u32_u24_e32 v1, 0xa0, v1
	v_lshlrev_b32_e32 v1, 2, v1
	s_waitcnt lgkmcnt(0)
	v_add_co_u32_e32 v3, vcc, s8, v1
	v_mbcnt_lo_u32_b32 v1, -1, 0
	v_mbcnt_hi_u32_b32 v1, -1, v1
	v_mov_b32_e32 v2, s9
	v_and_b32_e32 v1, 31, v1
	v_addc_co_u32_e32 v2, vcc, 0, v2, vcc
	v_lshlrev_b32_e32 v4, 2, v1
	s_mov_b32 s4, s7
	v_add_co_u32_e32 v8, vcc, v3, v4
	s_mov_b32 s0, s7
	s_mov_b32 s1, s7
	;; [unrolled: 1-line block ×4, first 2 shown]
	v_addc_co_u32_e32 v9, vcc, 0, v2, vcc
	v_mov_b32_e32 v6, s4
	v_cmp_gt_u32_e32 vcc, s6, v1
	v_mov_b32_e32 v5, s3
	v_mov_b32_e32 v4, s2
	;; [unrolled: 1-line block ×4, first 2 shown]
	s_and_saveexec_b64 s[8:9], vcc
	s_cbranch_execz .LBB66_2
; %bb.1:
	global_load_dword v7, v[8:9], off
	v_mov_b32_e32 v6, s4
	v_mov_b32_e32 v2, s0
	;; [unrolled: 1-line block ×5, first 2 shown]
	s_waitcnt vmcnt(0)
	v_mov_b32_e32 v2, v7
.LBB66_2:
	s_or_b64 exec, exec, s[8:9]
	v_or_b32_e32 v7, 32, v1
	v_cmp_gt_u32_e32 vcc, s6, v7
	s_and_saveexec_b64 s[0:1], vcc
	s_cbranch_execz .LBB66_4
; %bb.3:
	global_load_dword v3, v[8:9], off offset:128
.LBB66_4:
	s_or_b64 exec, exec, s[0:1]
	v_or_b32_e32 v7, 64, v1
	v_cmp_gt_u32_e32 vcc, s6, v7
	s_and_saveexec_b64 s[0:1], vcc
	s_cbranch_execz .LBB66_6
; %bb.5:
	global_load_dword v4, v[8:9], off offset:256
.LBB66_6:
	;; [unrolled: 8-line block ×4, first 2 shown]
	s_or_b64 exec, exec, s[0:1]
	v_mul_u32_u24_e32 v0, 5, v0
	v_lshlrev_b32_e32 v0, 2, v0
	s_waitcnt vmcnt(0)
	global_store_dwordx4 v0, v[2:5], s[10:11]
	global_store_dword v0, v6, s[10:11] offset:16
	s_endpgm
	.section	.rodata,"a",@progbits
	.p2align	6, 0x0
	.amdhsa_kernel _Z24warp_load_guarded_kernelILj1024ELj5ELj32ELN7rocprim17ROCPRIM_304000_NS16warp_load_methodE1EiEvPT3_S4_iS3_
		.amdhsa_group_segment_fixed_size 0
		.amdhsa_private_segment_fixed_size 0
		.amdhsa_kernarg_size 24
		.amdhsa_user_sgpr_count 6
		.amdhsa_user_sgpr_private_segment_buffer 1
		.amdhsa_user_sgpr_dispatch_ptr 0
		.amdhsa_user_sgpr_queue_ptr 0
		.amdhsa_user_sgpr_kernarg_segment_ptr 1
		.amdhsa_user_sgpr_dispatch_id 0
		.amdhsa_user_sgpr_flat_scratch_init 0
		.amdhsa_user_sgpr_kernarg_preload_length 0
		.amdhsa_user_sgpr_kernarg_preload_offset 0
		.amdhsa_user_sgpr_private_segment_size 0
		.amdhsa_uses_dynamic_stack 0
		.amdhsa_system_sgpr_private_segment_wavefront_offset 0
		.amdhsa_system_sgpr_workgroup_id_x 1
		.amdhsa_system_sgpr_workgroup_id_y 0
		.amdhsa_system_sgpr_workgroup_id_z 0
		.amdhsa_system_sgpr_workgroup_info 0
		.amdhsa_system_vgpr_workitem_id 0
		.amdhsa_next_free_vgpr 10
		.amdhsa_next_free_sgpr 12
		.amdhsa_accum_offset 12
		.amdhsa_reserve_vcc 1
		.amdhsa_reserve_flat_scratch 0
		.amdhsa_float_round_mode_32 0
		.amdhsa_float_round_mode_16_64 0
		.amdhsa_float_denorm_mode_32 3
		.amdhsa_float_denorm_mode_16_64 3
		.amdhsa_dx10_clamp 1
		.amdhsa_ieee_mode 1
		.amdhsa_fp16_overflow 0
		.amdhsa_tg_split 0
		.amdhsa_exception_fp_ieee_invalid_op 0
		.amdhsa_exception_fp_denorm_src 0
		.amdhsa_exception_fp_ieee_div_zero 0
		.amdhsa_exception_fp_ieee_overflow 0
		.amdhsa_exception_fp_ieee_underflow 0
		.amdhsa_exception_fp_ieee_inexact 0
		.amdhsa_exception_int_div_zero 0
	.end_amdhsa_kernel
	.section	.text._Z24warp_load_guarded_kernelILj1024ELj5ELj32ELN7rocprim17ROCPRIM_304000_NS16warp_load_methodE1EiEvPT3_S4_iS3_,"axG",@progbits,_Z24warp_load_guarded_kernelILj1024ELj5ELj32ELN7rocprim17ROCPRIM_304000_NS16warp_load_methodE1EiEvPT3_S4_iS3_,comdat
.Lfunc_end66:
	.size	_Z24warp_load_guarded_kernelILj1024ELj5ELj32ELN7rocprim17ROCPRIM_304000_NS16warp_load_methodE1EiEvPT3_S4_iS3_, .Lfunc_end66-_Z24warp_load_guarded_kernelILj1024ELj5ELj32ELN7rocprim17ROCPRIM_304000_NS16warp_load_methodE1EiEvPT3_S4_iS3_
                                        ; -- End function
	.section	.AMDGPU.csdata,"",@progbits
; Kernel info:
; codeLenInByte = 324
; NumSgprs: 16
; NumVgprs: 10
; NumAgprs: 0
; TotalNumVgprs: 10
; ScratchSize: 0
; MemoryBound: 0
; FloatMode: 240
; IeeeMode: 1
; LDSByteSize: 0 bytes/workgroup (compile time only)
; SGPRBlocks: 1
; VGPRBlocks: 1
; NumSGPRsForWavesPerEU: 16
; NumVGPRsForWavesPerEU: 10
; AccumOffset: 12
; Occupancy: 8
; WaveLimiterHint : 0
; COMPUTE_PGM_RSRC2:SCRATCH_EN: 0
; COMPUTE_PGM_RSRC2:USER_SGPR: 6
; COMPUTE_PGM_RSRC2:TRAP_HANDLER: 0
; COMPUTE_PGM_RSRC2:TGID_X_EN: 1
; COMPUTE_PGM_RSRC2:TGID_Y_EN: 0
; COMPUTE_PGM_RSRC2:TGID_Z_EN: 0
; COMPUTE_PGM_RSRC2:TIDIG_COMP_CNT: 0
; COMPUTE_PGM_RSRC3_GFX90A:ACCUM_OFFSET: 2
; COMPUTE_PGM_RSRC3_GFX90A:TG_SPLIT: 0
	.section	.text._Z24warp_load_guarded_kernelILj1024ELj5ELj32ELN7rocprim17ROCPRIM_304000_NS16warp_load_methodE0EiEvPT3_S4_iS3_,"axG",@progbits,_Z24warp_load_guarded_kernelILj1024ELj5ELj32ELN7rocprim17ROCPRIM_304000_NS16warp_load_methodE0EiEvPT3_S4_iS3_,comdat
	.protected	_Z24warp_load_guarded_kernelILj1024ELj5ELj32ELN7rocprim17ROCPRIM_304000_NS16warp_load_methodE0EiEvPT3_S4_iS3_ ; -- Begin function _Z24warp_load_guarded_kernelILj1024ELj5ELj32ELN7rocprim17ROCPRIM_304000_NS16warp_load_methodE0EiEvPT3_S4_iS3_
	.globl	_Z24warp_load_guarded_kernelILj1024ELj5ELj32ELN7rocprim17ROCPRIM_304000_NS16warp_load_methodE0EiEvPT3_S4_iS3_
	.p2align	8
	.type	_Z24warp_load_guarded_kernelILj1024ELj5ELj32ELN7rocprim17ROCPRIM_304000_NS16warp_load_methodE0EiEvPT3_S4_iS3_,@function
_Z24warp_load_guarded_kernelILj1024ELj5ELj32ELN7rocprim17ROCPRIM_304000_NS16warp_load_methodE0EiEvPT3_S4_iS3_: ; @_Z24warp_load_guarded_kernelILj1024ELj5ELj32ELN7rocprim17ROCPRIM_304000_NS16warp_load_methodE0EiEvPT3_S4_iS3_
; %bb.0:
	s_load_dwordx4 s[8:11], s[4:5], 0x0
	s_load_dwordx2 s[6:7], s[4:5], 0x10
	v_lshrrev_b32_e32 v1, 5, v0
	v_mul_u32_u24_e32 v1, 0xa0, v1
	v_lshlrev_b32_e32 v1, 2, v1
	s_waitcnt lgkmcnt(0)
	v_add_co_u32_e32 v3, vcc, s8, v1
	v_mbcnt_lo_u32_b32 v1, -1, 0
	v_mbcnt_hi_u32_b32 v1, -1, v1
	v_and_b32_e32 v1, 31, v1
	v_mov_b32_e32 v2, s9
	v_mul_u32_u24_e32 v1, 5, v1
	v_addc_co_u32_e32 v2, vcc, 0, v2, vcc
	v_lshlrev_b32_e32 v4, 2, v1
	s_mov_b32 s4, s7
	v_add_co_u32_e32 v8, vcc, v3, v4
	s_mov_b32 s0, s7
	s_mov_b32 s1, s7
	;; [unrolled: 1-line block ×4, first 2 shown]
	v_addc_co_u32_e32 v9, vcc, 0, v2, vcc
	v_mov_b32_e32 v6, s4
	v_cmp_gt_u32_e32 vcc, s6, v1
	v_mov_b32_e32 v5, s3
	v_mov_b32_e32 v4, s2
	;; [unrolled: 1-line block ×4, first 2 shown]
	s_and_saveexec_b64 s[8:9], vcc
	s_cbranch_execz .LBB67_2
; %bb.1:
	global_load_dword v7, v[8:9], off
	v_mov_b32_e32 v6, s4
	v_mov_b32_e32 v2, s0
	;; [unrolled: 1-line block ×5, first 2 shown]
	s_waitcnt vmcnt(0)
	v_mov_b32_e32 v2, v7
.LBB67_2:
	s_or_b64 exec, exec, s[8:9]
	v_add_u32_e32 v7, 1, v1
	v_cmp_gt_u32_e32 vcc, s6, v7
	s_and_saveexec_b64 s[0:1], vcc
	s_cbranch_execz .LBB67_4
; %bb.3:
	global_load_dword v3, v[8:9], off offset:4
.LBB67_4:
	s_or_b64 exec, exec, s[0:1]
	v_add_u32_e32 v7, 2, v1
	v_cmp_gt_u32_e32 vcc, s6, v7
	s_and_saveexec_b64 s[0:1], vcc
	s_cbranch_execz .LBB67_6
; %bb.5:
	global_load_dword v4, v[8:9], off offset:8
.LBB67_6:
	;; [unrolled: 8-line block ×4, first 2 shown]
	s_or_b64 exec, exec, s[0:1]
	v_mul_u32_u24_e32 v0, 5, v0
	v_lshlrev_b32_e32 v0, 2, v0
	s_waitcnt vmcnt(0)
	global_store_dwordx4 v0, v[2:5], s[10:11]
	global_store_dword v0, v6, s[10:11] offset:16
	s_endpgm
	.section	.rodata,"a",@progbits
	.p2align	6, 0x0
	.amdhsa_kernel _Z24warp_load_guarded_kernelILj1024ELj5ELj32ELN7rocprim17ROCPRIM_304000_NS16warp_load_methodE0EiEvPT3_S4_iS3_
		.amdhsa_group_segment_fixed_size 0
		.amdhsa_private_segment_fixed_size 0
		.amdhsa_kernarg_size 24
		.amdhsa_user_sgpr_count 6
		.amdhsa_user_sgpr_private_segment_buffer 1
		.amdhsa_user_sgpr_dispatch_ptr 0
		.amdhsa_user_sgpr_queue_ptr 0
		.amdhsa_user_sgpr_kernarg_segment_ptr 1
		.amdhsa_user_sgpr_dispatch_id 0
		.amdhsa_user_sgpr_flat_scratch_init 0
		.amdhsa_user_sgpr_kernarg_preload_length 0
		.amdhsa_user_sgpr_kernarg_preload_offset 0
		.amdhsa_user_sgpr_private_segment_size 0
		.amdhsa_uses_dynamic_stack 0
		.amdhsa_system_sgpr_private_segment_wavefront_offset 0
		.amdhsa_system_sgpr_workgroup_id_x 1
		.amdhsa_system_sgpr_workgroup_id_y 0
		.amdhsa_system_sgpr_workgroup_id_z 0
		.amdhsa_system_sgpr_workgroup_info 0
		.amdhsa_system_vgpr_workitem_id 0
		.amdhsa_next_free_vgpr 10
		.amdhsa_next_free_sgpr 12
		.amdhsa_accum_offset 12
		.amdhsa_reserve_vcc 1
		.amdhsa_reserve_flat_scratch 0
		.amdhsa_float_round_mode_32 0
		.amdhsa_float_round_mode_16_64 0
		.amdhsa_float_denorm_mode_32 3
		.amdhsa_float_denorm_mode_16_64 3
		.amdhsa_dx10_clamp 1
		.amdhsa_ieee_mode 1
		.amdhsa_fp16_overflow 0
		.amdhsa_tg_split 0
		.amdhsa_exception_fp_ieee_invalid_op 0
		.amdhsa_exception_fp_denorm_src 0
		.amdhsa_exception_fp_ieee_div_zero 0
		.amdhsa_exception_fp_ieee_overflow 0
		.amdhsa_exception_fp_ieee_underflow 0
		.amdhsa_exception_fp_ieee_inexact 0
		.amdhsa_exception_int_div_zero 0
	.end_amdhsa_kernel
	.section	.text._Z24warp_load_guarded_kernelILj1024ELj5ELj32ELN7rocprim17ROCPRIM_304000_NS16warp_load_methodE0EiEvPT3_S4_iS3_,"axG",@progbits,_Z24warp_load_guarded_kernelILj1024ELj5ELj32ELN7rocprim17ROCPRIM_304000_NS16warp_load_methodE0EiEvPT3_S4_iS3_,comdat
.Lfunc_end67:
	.size	_Z24warp_load_guarded_kernelILj1024ELj5ELj32ELN7rocprim17ROCPRIM_304000_NS16warp_load_methodE0EiEvPT3_S4_iS3_, .Lfunc_end67-_Z24warp_load_guarded_kernelILj1024ELj5ELj32ELN7rocprim17ROCPRIM_304000_NS16warp_load_methodE0EiEvPT3_S4_iS3_
                                        ; -- End function
	.section	.AMDGPU.csdata,"",@progbits
; Kernel info:
; codeLenInByte = 320
; NumSgprs: 16
; NumVgprs: 10
; NumAgprs: 0
; TotalNumVgprs: 10
; ScratchSize: 0
; MemoryBound: 0
; FloatMode: 240
; IeeeMode: 1
; LDSByteSize: 0 bytes/workgroup (compile time only)
; SGPRBlocks: 1
; VGPRBlocks: 1
; NumSGPRsForWavesPerEU: 16
; NumVGPRsForWavesPerEU: 10
; AccumOffset: 12
; Occupancy: 8
; WaveLimiterHint : 0
; COMPUTE_PGM_RSRC2:SCRATCH_EN: 0
; COMPUTE_PGM_RSRC2:USER_SGPR: 6
; COMPUTE_PGM_RSRC2:TRAP_HANDLER: 0
; COMPUTE_PGM_RSRC2:TGID_X_EN: 1
; COMPUTE_PGM_RSRC2:TGID_Y_EN: 0
; COMPUTE_PGM_RSRC2:TGID_Z_EN: 0
; COMPUTE_PGM_RSRC2:TIDIG_COMP_CNT: 0
; COMPUTE_PGM_RSRC3_GFX90A:ACCUM_OFFSET: 2
; COMPUTE_PGM_RSRC3_GFX90A:TG_SPLIT: 0
	.section	.text._Z24warp_load_guarded_kernelILj1024ELj4ELj32ELN7rocprim17ROCPRIM_304000_NS16warp_load_methodE3EiEvPT3_S4_iS3_,"axG",@progbits,_Z24warp_load_guarded_kernelILj1024ELj4ELj32ELN7rocprim17ROCPRIM_304000_NS16warp_load_methodE3EiEvPT3_S4_iS3_,comdat
	.protected	_Z24warp_load_guarded_kernelILj1024ELj4ELj32ELN7rocprim17ROCPRIM_304000_NS16warp_load_methodE3EiEvPT3_S4_iS3_ ; -- Begin function _Z24warp_load_guarded_kernelILj1024ELj4ELj32ELN7rocprim17ROCPRIM_304000_NS16warp_load_methodE3EiEvPT3_S4_iS3_
	.globl	_Z24warp_load_guarded_kernelILj1024ELj4ELj32ELN7rocprim17ROCPRIM_304000_NS16warp_load_methodE3EiEvPT3_S4_iS3_
	.p2align	8
	.type	_Z24warp_load_guarded_kernelILj1024ELj4ELj32ELN7rocprim17ROCPRIM_304000_NS16warp_load_methodE3EiEvPT3_S4_iS3_,@function
_Z24warp_load_guarded_kernelILj1024ELj4ELj32ELN7rocprim17ROCPRIM_304000_NS16warp_load_methodE3EiEvPT3_S4_iS3_: ; @_Z24warp_load_guarded_kernelILj1024ELj4ELj32ELN7rocprim17ROCPRIM_304000_NS16warp_load_methodE3EiEvPT3_S4_iS3_
; %bb.0:
	s_load_dwordx4 s[0:3], s[4:5], 0x0
	s_load_dwordx2 s[8:9], s[4:5], 0x10
	v_lshrrev_b32_e32 v1, 5, v0
	v_mbcnt_lo_u32_b32 v4, -1, 0
	v_lshlrev_b32_e32 v2, 9, v1
	v_mbcnt_hi_u32_b32 v4, -1, v4
	s_waitcnt lgkmcnt(0)
	v_mov_b32_e32 v3, s1
	v_add_co_u32_e32 v2, vcc, s0, v2
	v_and_b32_e32 v8, 31, v4
	v_addc_co_u32_e32 v3, vcc, 0, v3, vcc
	v_lshlrev_b32_e32 v9, 2, v8
	s_mov_b32 s4, s9
	s_mov_b32 s5, s9
	v_add_co_u32_e32 v6, vcc, v2, v9
	s_mov_b32 s6, s9
	s_mov_b32 s7, s9
	v_addc_co_u32_e32 v7, vcc, 0, v3, vcc
	v_pk_mov_b32 v[2:3], s[4:5], s[4:5] op_sel:[0,1]
	v_cmp_gt_u32_e32 vcc, s8, v8
	v_pk_mov_b32 v[4:5], s[6:7], s[6:7] op_sel:[0,1]
	v_mov_b32_e32 v10, s9
	s_and_saveexec_b64 s[0:1], vcc
	s_cbranch_execz .LBB68_2
; %bb.1:
	global_load_dword v10, v[6:7], off
	v_pk_mov_b32 v[2:3], s[4:5], s[4:5] op_sel:[0,1]
	v_pk_mov_b32 v[4:5], s[6:7], s[6:7] op_sel:[0,1]
                                        ; kill: def $vgpr2 killed $vgpr10 killed $exec
.LBB68_2:
	s_or_b64 exec, exec, s[0:1]
	v_or_b32_e32 v2, 32, v8
	v_cmp_gt_u32_e32 vcc, s8, v2
	s_and_saveexec_b64 s[0:1], vcc
	s_cbranch_execz .LBB68_4
; %bb.3:
	global_load_dword v3, v[6:7], off offset:128
.LBB68_4:
	s_or_b64 exec, exec, s[0:1]
	v_or_b32_e32 v2, 64, v8
	v_cmp_gt_u32_e32 vcc, s8, v2
	s_and_saveexec_b64 s[0:1], vcc
	s_cbranch_execz .LBB68_6
; %bb.5:
	global_load_dword v4, v[6:7], off offset:256
.LBB68_6:
	;; [unrolled: 8-line block ×3, first 2 shown]
	s_or_b64 exec, exec, s[0:1]
	v_lshl_or_b32 v1, v1, 9, v9
	s_waitcnt vmcnt(0)
	ds_write2_b32 v1, v10, v3 offset1:32
	ds_write2_b32 v1, v4, v5 offset0:64 offset1:96
	v_mad_u32_u24 v1, v8, 12, v1
	; wave barrier
	ds_read_b128 v[2:5], v1
	v_lshlrev_b32_e32 v0, 4, v0
	s_waitcnt lgkmcnt(0)
	global_store_dwordx4 v0, v[2:5], s[2:3]
	s_endpgm
	.section	.rodata,"a",@progbits
	.p2align	6, 0x0
	.amdhsa_kernel _Z24warp_load_guarded_kernelILj1024ELj4ELj32ELN7rocprim17ROCPRIM_304000_NS16warp_load_methodE3EiEvPT3_S4_iS3_
		.amdhsa_group_segment_fixed_size 16384
		.amdhsa_private_segment_fixed_size 0
		.amdhsa_kernarg_size 24
		.amdhsa_user_sgpr_count 6
		.amdhsa_user_sgpr_private_segment_buffer 1
		.amdhsa_user_sgpr_dispatch_ptr 0
		.amdhsa_user_sgpr_queue_ptr 0
		.amdhsa_user_sgpr_kernarg_segment_ptr 1
		.amdhsa_user_sgpr_dispatch_id 0
		.amdhsa_user_sgpr_flat_scratch_init 0
		.amdhsa_user_sgpr_kernarg_preload_length 0
		.amdhsa_user_sgpr_kernarg_preload_offset 0
		.amdhsa_user_sgpr_private_segment_size 0
		.amdhsa_uses_dynamic_stack 0
		.amdhsa_system_sgpr_private_segment_wavefront_offset 0
		.amdhsa_system_sgpr_workgroup_id_x 1
		.amdhsa_system_sgpr_workgroup_id_y 0
		.amdhsa_system_sgpr_workgroup_id_z 0
		.amdhsa_system_sgpr_workgroup_info 0
		.amdhsa_system_vgpr_workitem_id 0
		.amdhsa_next_free_vgpr 11
		.amdhsa_next_free_sgpr 10
		.amdhsa_accum_offset 12
		.amdhsa_reserve_vcc 1
		.amdhsa_reserve_flat_scratch 0
		.amdhsa_float_round_mode_32 0
		.amdhsa_float_round_mode_16_64 0
		.amdhsa_float_denorm_mode_32 3
		.amdhsa_float_denorm_mode_16_64 3
		.amdhsa_dx10_clamp 1
		.amdhsa_ieee_mode 1
		.amdhsa_fp16_overflow 0
		.amdhsa_tg_split 0
		.amdhsa_exception_fp_ieee_invalid_op 0
		.amdhsa_exception_fp_denorm_src 0
		.amdhsa_exception_fp_ieee_div_zero 0
		.amdhsa_exception_fp_ieee_overflow 0
		.amdhsa_exception_fp_ieee_underflow 0
		.amdhsa_exception_fp_ieee_inexact 0
		.amdhsa_exception_int_div_zero 0
	.end_amdhsa_kernel
	.section	.text._Z24warp_load_guarded_kernelILj1024ELj4ELj32ELN7rocprim17ROCPRIM_304000_NS16warp_load_methodE3EiEvPT3_S4_iS3_,"axG",@progbits,_Z24warp_load_guarded_kernelILj1024ELj4ELj32ELN7rocprim17ROCPRIM_304000_NS16warp_load_methodE3EiEvPT3_S4_iS3_,comdat
.Lfunc_end68:
	.size	_Z24warp_load_guarded_kernelILj1024ELj4ELj32ELN7rocprim17ROCPRIM_304000_NS16warp_load_methodE3EiEvPT3_S4_iS3_, .Lfunc_end68-_Z24warp_load_guarded_kernelILj1024ELj4ELj32ELN7rocprim17ROCPRIM_304000_NS16warp_load_methodE3EiEvPT3_S4_iS3_
                                        ; -- End function
	.section	.AMDGPU.csdata,"",@progbits
; Kernel info:
; codeLenInByte = 300
; NumSgprs: 14
; NumVgprs: 11
; NumAgprs: 0
; TotalNumVgprs: 11
; ScratchSize: 0
; MemoryBound: 0
; FloatMode: 240
; IeeeMode: 1
; LDSByteSize: 16384 bytes/workgroup (compile time only)
; SGPRBlocks: 1
; VGPRBlocks: 1
; NumSGPRsForWavesPerEU: 14
; NumVGPRsForWavesPerEU: 11
; AccumOffset: 12
; Occupancy: 8
; WaveLimiterHint : 0
; COMPUTE_PGM_RSRC2:SCRATCH_EN: 0
; COMPUTE_PGM_RSRC2:USER_SGPR: 6
; COMPUTE_PGM_RSRC2:TRAP_HANDLER: 0
; COMPUTE_PGM_RSRC2:TGID_X_EN: 1
; COMPUTE_PGM_RSRC2:TGID_Y_EN: 0
; COMPUTE_PGM_RSRC2:TGID_Z_EN: 0
; COMPUTE_PGM_RSRC2:TIDIG_COMP_CNT: 0
; COMPUTE_PGM_RSRC3_GFX90A:ACCUM_OFFSET: 2
; COMPUTE_PGM_RSRC3_GFX90A:TG_SPLIT: 0
	.section	.text._Z24warp_load_guarded_kernelILj1024ELj4ELj32ELN7rocprim17ROCPRIM_304000_NS16warp_load_methodE2EiEvPT3_S4_iS3_,"axG",@progbits,_Z24warp_load_guarded_kernelILj1024ELj4ELj32ELN7rocprim17ROCPRIM_304000_NS16warp_load_methodE2EiEvPT3_S4_iS3_,comdat
	.protected	_Z24warp_load_guarded_kernelILj1024ELj4ELj32ELN7rocprim17ROCPRIM_304000_NS16warp_load_methodE2EiEvPT3_S4_iS3_ ; -- Begin function _Z24warp_load_guarded_kernelILj1024ELj4ELj32ELN7rocprim17ROCPRIM_304000_NS16warp_load_methodE2EiEvPT3_S4_iS3_
	.globl	_Z24warp_load_guarded_kernelILj1024ELj4ELj32ELN7rocprim17ROCPRIM_304000_NS16warp_load_methodE2EiEvPT3_S4_iS3_
	.p2align	8
	.type	_Z24warp_load_guarded_kernelILj1024ELj4ELj32ELN7rocprim17ROCPRIM_304000_NS16warp_load_methodE2EiEvPT3_S4_iS3_,@function
_Z24warp_load_guarded_kernelILj1024ELj4ELj32ELN7rocprim17ROCPRIM_304000_NS16warp_load_methodE2EiEvPT3_S4_iS3_: ; @_Z24warp_load_guarded_kernelILj1024ELj4ELj32ELN7rocprim17ROCPRIM_304000_NS16warp_load_methodE2EiEvPT3_S4_iS3_
; %bb.0:
	s_load_dwordx4 s[0:3], s[4:5], 0x0
	s_load_dwordx2 s[8:9], s[4:5], 0x10
	v_lshlrev_b32_e32 v1, 4, v0
	v_and_b32_e32 v1, 0x3e00, v1
	s_waitcnt lgkmcnt(0)
	v_add_co_u32_e32 v3, vcc, s0, v1
	v_mbcnt_lo_u32_b32 v1, -1, 0
	v_mbcnt_hi_u32_b32 v1, -1, v1
	v_lshlrev_b32_e32 v1, 2, v1
	v_mov_b32_e32 v2, s1
	v_and_b32_e32 v1, 0x7c, v1
	v_addc_co_u32_e32 v2, vcc, 0, v2, vcc
	v_lshlrev_b32_e32 v4, 2, v1
	s_mov_b32 s4, s9
	s_mov_b32 s5, s9
	v_add_co_u32_e32 v6, vcc, v3, v4
	s_mov_b32 s6, s9
	s_mov_b32 s7, s9
	v_addc_co_u32_e32 v7, vcc, 0, v2, vcc
	v_pk_mov_b32 v[2:3], s[4:5], s[4:5] op_sel:[0,1]
	v_cmp_gt_u32_e32 vcc, s8, v1
	v_pk_mov_b32 v[4:5], s[6:7], s[6:7] op_sel:[0,1]
	s_and_saveexec_b64 s[0:1], vcc
	s_cbranch_execz .LBB69_2
; %bb.1:
	global_load_dword v8, v[6:7], off
	v_pk_mov_b32 v[2:3], s[4:5], s[4:5] op_sel:[0,1]
	v_pk_mov_b32 v[4:5], s[6:7], s[6:7] op_sel:[0,1]
	s_waitcnt vmcnt(0)
	v_mov_b32_e32 v2, v8
.LBB69_2:
	s_or_b64 exec, exec, s[0:1]
	v_or_b32_e32 v8, 1, v1
	v_cmp_gt_u32_e32 vcc, s8, v8
	s_and_saveexec_b64 s[0:1], vcc
	s_cbranch_execz .LBB69_4
; %bb.3:
	global_load_dword v3, v[6:7], off offset:4
.LBB69_4:
	s_or_b64 exec, exec, s[0:1]
	v_or_b32_e32 v8, 2, v1
	v_cmp_gt_u32_e32 vcc, s8, v8
	s_and_saveexec_b64 s[0:1], vcc
	s_cbranch_execz .LBB69_6
; %bb.5:
	global_load_dword v4, v[6:7], off offset:8
.LBB69_6:
	s_or_b64 exec, exec, s[0:1]
	v_or_b32_e32 v1, 3, v1
	v_lshlrev_b32_e32 v0, 2, v0
	v_cmp_gt_u32_e32 vcc, s8, v1
	s_and_saveexec_b64 s[0:1], vcc
	s_cbranch_execz .LBB69_8
; %bb.7:
	global_load_dword v5, v[6:7], off offset:12
.LBB69_8:
	s_or_b64 exec, exec, s[0:1]
	v_lshlrev_b32_e32 v0, 2, v0
	s_waitcnt vmcnt(0)
	global_store_dwordx4 v0, v[2:5], s[2:3]
	s_endpgm
	.section	.rodata,"a",@progbits
	.p2align	6, 0x0
	.amdhsa_kernel _Z24warp_load_guarded_kernelILj1024ELj4ELj32ELN7rocprim17ROCPRIM_304000_NS16warp_load_methodE2EiEvPT3_S4_iS3_
		.amdhsa_group_segment_fixed_size 0
		.amdhsa_private_segment_fixed_size 0
		.amdhsa_kernarg_size 24
		.amdhsa_user_sgpr_count 6
		.amdhsa_user_sgpr_private_segment_buffer 1
		.amdhsa_user_sgpr_dispatch_ptr 0
		.amdhsa_user_sgpr_queue_ptr 0
		.amdhsa_user_sgpr_kernarg_segment_ptr 1
		.amdhsa_user_sgpr_dispatch_id 0
		.amdhsa_user_sgpr_flat_scratch_init 0
		.amdhsa_user_sgpr_kernarg_preload_length 0
		.amdhsa_user_sgpr_kernarg_preload_offset 0
		.amdhsa_user_sgpr_private_segment_size 0
		.amdhsa_uses_dynamic_stack 0
		.amdhsa_system_sgpr_private_segment_wavefront_offset 0
		.amdhsa_system_sgpr_workgroup_id_x 1
		.amdhsa_system_sgpr_workgroup_id_y 0
		.amdhsa_system_sgpr_workgroup_id_z 0
		.amdhsa_system_sgpr_workgroup_info 0
		.amdhsa_system_vgpr_workitem_id 0
		.amdhsa_next_free_vgpr 9
		.amdhsa_next_free_sgpr 10
		.amdhsa_accum_offset 12
		.amdhsa_reserve_vcc 1
		.amdhsa_reserve_flat_scratch 0
		.amdhsa_float_round_mode_32 0
		.amdhsa_float_round_mode_16_64 0
		.amdhsa_float_denorm_mode_32 3
		.amdhsa_float_denorm_mode_16_64 3
		.amdhsa_dx10_clamp 1
		.amdhsa_ieee_mode 1
		.amdhsa_fp16_overflow 0
		.amdhsa_tg_split 0
		.amdhsa_exception_fp_ieee_invalid_op 0
		.amdhsa_exception_fp_denorm_src 0
		.amdhsa_exception_fp_ieee_div_zero 0
		.amdhsa_exception_fp_ieee_overflow 0
		.amdhsa_exception_fp_ieee_underflow 0
		.amdhsa_exception_fp_ieee_inexact 0
		.amdhsa_exception_int_div_zero 0
	.end_amdhsa_kernel
	.section	.text._Z24warp_load_guarded_kernelILj1024ELj4ELj32ELN7rocprim17ROCPRIM_304000_NS16warp_load_methodE2EiEvPT3_S4_iS3_,"axG",@progbits,_Z24warp_load_guarded_kernelILj1024ELj4ELj32ELN7rocprim17ROCPRIM_304000_NS16warp_load_methodE2EiEvPT3_S4_iS3_,comdat
.Lfunc_end69:
	.size	_Z24warp_load_guarded_kernelILj1024ELj4ELj32ELN7rocprim17ROCPRIM_304000_NS16warp_load_methodE2EiEvPT3_S4_iS3_, .Lfunc_end69-_Z24warp_load_guarded_kernelILj1024ELj4ELj32ELN7rocprim17ROCPRIM_304000_NS16warp_load_methodE2EiEvPT3_S4_iS3_
                                        ; -- End function
	.section	.AMDGPU.csdata,"",@progbits
; Kernel info:
; codeLenInByte = 272
; NumSgprs: 14
; NumVgprs: 9
; NumAgprs: 0
; TotalNumVgprs: 9
; ScratchSize: 0
; MemoryBound: 0
; FloatMode: 240
; IeeeMode: 1
; LDSByteSize: 0 bytes/workgroup (compile time only)
; SGPRBlocks: 1
; VGPRBlocks: 1
; NumSGPRsForWavesPerEU: 14
; NumVGPRsForWavesPerEU: 9
; AccumOffset: 12
; Occupancy: 8
; WaveLimiterHint : 0
; COMPUTE_PGM_RSRC2:SCRATCH_EN: 0
; COMPUTE_PGM_RSRC2:USER_SGPR: 6
; COMPUTE_PGM_RSRC2:TRAP_HANDLER: 0
; COMPUTE_PGM_RSRC2:TGID_X_EN: 1
; COMPUTE_PGM_RSRC2:TGID_Y_EN: 0
; COMPUTE_PGM_RSRC2:TGID_Z_EN: 0
; COMPUTE_PGM_RSRC2:TIDIG_COMP_CNT: 0
; COMPUTE_PGM_RSRC3_GFX90A:ACCUM_OFFSET: 2
; COMPUTE_PGM_RSRC3_GFX90A:TG_SPLIT: 0
	.section	.text._Z24warp_load_guarded_kernelILj1024ELj4ELj32ELN7rocprim17ROCPRIM_304000_NS16warp_load_methodE1EiEvPT3_S4_iS3_,"axG",@progbits,_Z24warp_load_guarded_kernelILj1024ELj4ELj32ELN7rocprim17ROCPRIM_304000_NS16warp_load_methodE1EiEvPT3_S4_iS3_,comdat
	.protected	_Z24warp_load_guarded_kernelILj1024ELj4ELj32ELN7rocprim17ROCPRIM_304000_NS16warp_load_methodE1EiEvPT3_S4_iS3_ ; -- Begin function _Z24warp_load_guarded_kernelILj1024ELj4ELj32ELN7rocprim17ROCPRIM_304000_NS16warp_load_methodE1EiEvPT3_S4_iS3_
	.globl	_Z24warp_load_guarded_kernelILj1024ELj4ELj32ELN7rocprim17ROCPRIM_304000_NS16warp_load_methodE1EiEvPT3_S4_iS3_
	.p2align	8
	.type	_Z24warp_load_guarded_kernelILj1024ELj4ELj32ELN7rocprim17ROCPRIM_304000_NS16warp_load_methodE1EiEvPT3_S4_iS3_,@function
_Z24warp_load_guarded_kernelILj1024ELj4ELj32ELN7rocprim17ROCPRIM_304000_NS16warp_load_methodE1EiEvPT3_S4_iS3_: ; @_Z24warp_load_guarded_kernelILj1024ELj4ELj32ELN7rocprim17ROCPRIM_304000_NS16warp_load_methodE1EiEvPT3_S4_iS3_
; %bb.0:
	s_load_dwordx4 s[0:3], s[4:5], 0x0
	s_load_dwordx2 s[8:9], s[4:5], 0x10
	v_lshlrev_b32_e32 v1, 4, v0
	v_and_b32_e32 v1, 0x3e00, v1
	s_waitcnt lgkmcnt(0)
	v_add_co_u32_e32 v3, vcc, s0, v1
	v_mbcnt_lo_u32_b32 v1, -1, 0
	v_mbcnt_hi_u32_b32 v1, -1, v1
	v_mov_b32_e32 v2, s1
	v_and_b32_e32 v1, 31, v1
	v_addc_co_u32_e32 v2, vcc, 0, v2, vcc
	v_lshlrev_b32_e32 v4, 2, v1
	s_mov_b32 s4, s9
	s_mov_b32 s5, s9
	v_add_co_u32_e32 v6, vcc, v3, v4
	s_mov_b32 s6, s9
	s_mov_b32 s7, s9
	v_addc_co_u32_e32 v7, vcc, 0, v2, vcc
	v_pk_mov_b32 v[2:3], s[4:5], s[4:5] op_sel:[0,1]
	v_cmp_gt_u32_e32 vcc, s8, v1
	v_pk_mov_b32 v[4:5], s[6:7], s[6:7] op_sel:[0,1]
	s_and_saveexec_b64 s[0:1], vcc
	s_cbranch_execz .LBB70_2
; %bb.1:
	global_load_dword v8, v[6:7], off
	v_pk_mov_b32 v[2:3], s[4:5], s[4:5] op_sel:[0,1]
	v_pk_mov_b32 v[4:5], s[6:7], s[6:7] op_sel:[0,1]
	s_waitcnt vmcnt(0)
	v_mov_b32_e32 v2, v8
.LBB70_2:
	s_or_b64 exec, exec, s[0:1]
	v_or_b32_e32 v8, 32, v1
	v_cmp_gt_u32_e32 vcc, s8, v8
	s_and_saveexec_b64 s[0:1], vcc
	s_cbranch_execz .LBB70_4
; %bb.3:
	global_load_dword v3, v[6:7], off offset:128
.LBB70_4:
	s_or_b64 exec, exec, s[0:1]
	v_or_b32_e32 v8, 64, v1
	v_cmp_gt_u32_e32 vcc, s8, v8
	s_and_saveexec_b64 s[0:1], vcc
	s_cbranch_execz .LBB70_6
; %bb.5:
	global_load_dword v4, v[6:7], off offset:256
.LBB70_6:
	s_or_b64 exec, exec, s[0:1]
	v_or_b32_e32 v1, 0x60, v1
	v_lshlrev_b32_e32 v0, 2, v0
	v_cmp_gt_u32_e32 vcc, s8, v1
	s_and_saveexec_b64 s[0:1], vcc
	s_cbranch_execz .LBB70_8
; %bb.7:
	global_load_dword v5, v[6:7], off offset:384
.LBB70_8:
	s_or_b64 exec, exec, s[0:1]
	v_lshlrev_b32_e32 v0, 2, v0
	s_waitcnt vmcnt(0)
	global_store_dwordx4 v0, v[2:5], s[2:3]
	s_endpgm
	.section	.rodata,"a",@progbits
	.p2align	6, 0x0
	.amdhsa_kernel _Z24warp_load_guarded_kernelILj1024ELj4ELj32ELN7rocprim17ROCPRIM_304000_NS16warp_load_methodE1EiEvPT3_S4_iS3_
		.amdhsa_group_segment_fixed_size 0
		.amdhsa_private_segment_fixed_size 0
		.amdhsa_kernarg_size 24
		.amdhsa_user_sgpr_count 6
		.amdhsa_user_sgpr_private_segment_buffer 1
		.amdhsa_user_sgpr_dispatch_ptr 0
		.amdhsa_user_sgpr_queue_ptr 0
		.amdhsa_user_sgpr_kernarg_segment_ptr 1
		.amdhsa_user_sgpr_dispatch_id 0
		.amdhsa_user_sgpr_flat_scratch_init 0
		.amdhsa_user_sgpr_kernarg_preload_length 0
		.amdhsa_user_sgpr_kernarg_preload_offset 0
		.amdhsa_user_sgpr_private_segment_size 0
		.amdhsa_uses_dynamic_stack 0
		.amdhsa_system_sgpr_private_segment_wavefront_offset 0
		.amdhsa_system_sgpr_workgroup_id_x 1
		.amdhsa_system_sgpr_workgroup_id_y 0
		.amdhsa_system_sgpr_workgroup_id_z 0
		.amdhsa_system_sgpr_workgroup_info 0
		.amdhsa_system_vgpr_workitem_id 0
		.amdhsa_next_free_vgpr 9
		.amdhsa_next_free_sgpr 10
		.amdhsa_accum_offset 12
		.amdhsa_reserve_vcc 1
		.amdhsa_reserve_flat_scratch 0
		.amdhsa_float_round_mode_32 0
		.amdhsa_float_round_mode_16_64 0
		.amdhsa_float_denorm_mode_32 3
		.amdhsa_float_denorm_mode_16_64 3
		.amdhsa_dx10_clamp 1
		.amdhsa_ieee_mode 1
		.amdhsa_fp16_overflow 0
		.amdhsa_tg_split 0
		.amdhsa_exception_fp_ieee_invalid_op 0
		.amdhsa_exception_fp_denorm_src 0
		.amdhsa_exception_fp_ieee_div_zero 0
		.amdhsa_exception_fp_ieee_overflow 0
		.amdhsa_exception_fp_ieee_underflow 0
		.amdhsa_exception_fp_ieee_inexact 0
		.amdhsa_exception_int_div_zero 0
	.end_amdhsa_kernel
	.section	.text._Z24warp_load_guarded_kernelILj1024ELj4ELj32ELN7rocprim17ROCPRIM_304000_NS16warp_load_methodE1EiEvPT3_S4_iS3_,"axG",@progbits,_Z24warp_load_guarded_kernelILj1024ELj4ELj32ELN7rocprim17ROCPRIM_304000_NS16warp_load_methodE1EiEvPT3_S4_iS3_,comdat
.Lfunc_end70:
	.size	_Z24warp_load_guarded_kernelILj1024ELj4ELj32ELN7rocprim17ROCPRIM_304000_NS16warp_load_methodE1EiEvPT3_S4_iS3_, .Lfunc_end70-_Z24warp_load_guarded_kernelILj1024ELj4ELj32ELN7rocprim17ROCPRIM_304000_NS16warp_load_methodE1EiEvPT3_S4_iS3_
                                        ; -- End function
	.section	.AMDGPU.csdata,"",@progbits
; Kernel info:
; codeLenInByte = 268
; NumSgprs: 14
; NumVgprs: 9
; NumAgprs: 0
; TotalNumVgprs: 9
; ScratchSize: 0
; MemoryBound: 0
; FloatMode: 240
; IeeeMode: 1
; LDSByteSize: 0 bytes/workgroup (compile time only)
; SGPRBlocks: 1
; VGPRBlocks: 1
; NumSGPRsForWavesPerEU: 14
; NumVGPRsForWavesPerEU: 9
; AccumOffset: 12
; Occupancy: 8
; WaveLimiterHint : 0
; COMPUTE_PGM_RSRC2:SCRATCH_EN: 0
; COMPUTE_PGM_RSRC2:USER_SGPR: 6
; COMPUTE_PGM_RSRC2:TRAP_HANDLER: 0
; COMPUTE_PGM_RSRC2:TGID_X_EN: 1
; COMPUTE_PGM_RSRC2:TGID_Y_EN: 0
; COMPUTE_PGM_RSRC2:TGID_Z_EN: 0
; COMPUTE_PGM_RSRC2:TIDIG_COMP_CNT: 0
; COMPUTE_PGM_RSRC3_GFX90A:ACCUM_OFFSET: 2
; COMPUTE_PGM_RSRC3_GFX90A:TG_SPLIT: 0
	.section	.text._Z24warp_load_guarded_kernelILj1024ELj4ELj32ELN7rocprim17ROCPRIM_304000_NS16warp_load_methodE0EiEvPT3_S4_iS3_,"axG",@progbits,_Z24warp_load_guarded_kernelILj1024ELj4ELj32ELN7rocprim17ROCPRIM_304000_NS16warp_load_methodE0EiEvPT3_S4_iS3_,comdat
	.protected	_Z24warp_load_guarded_kernelILj1024ELj4ELj32ELN7rocprim17ROCPRIM_304000_NS16warp_load_methodE0EiEvPT3_S4_iS3_ ; -- Begin function _Z24warp_load_guarded_kernelILj1024ELj4ELj32ELN7rocprim17ROCPRIM_304000_NS16warp_load_methodE0EiEvPT3_S4_iS3_
	.globl	_Z24warp_load_guarded_kernelILj1024ELj4ELj32ELN7rocprim17ROCPRIM_304000_NS16warp_load_methodE0EiEvPT3_S4_iS3_
	.p2align	8
	.type	_Z24warp_load_guarded_kernelILj1024ELj4ELj32ELN7rocprim17ROCPRIM_304000_NS16warp_load_methodE0EiEvPT3_S4_iS3_,@function
_Z24warp_load_guarded_kernelILj1024ELj4ELj32ELN7rocprim17ROCPRIM_304000_NS16warp_load_methodE0EiEvPT3_S4_iS3_: ; @_Z24warp_load_guarded_kernelILj1024ELj4ELj32ELN7rocprim17ROCPRIM_304000_NS16warp_load_methodE0EiEvPT3_S4_iS3_
; %bb.0:
	s_load_dwordx4 s[0:3], s[4:5], 0x0
	s_load_dwordx2 s[8:9], s[4:5], 0x10
	v_lshlrev_b32_e32 v1, 4, v0
	v_and_b32_e32 v1, 0x3e00, v1
	s_waitcnt lgkmcnt(0)
	v_add_co_u32_e32 v3, vcc, s0, v1
	v_mbcnt_lo_u32_b32 v1, -1, 0
	v_mbcnt_hi_u32_b32 v1, -1, v1
	v_lshlrev_b32_e32 v1, 2, v1
	v_mov_b32_e32 v2, s1
	v_and_b32_e32 v1, 0x7c, v1
	v_addc_co_u32_e32 v2, vcc, 0, v2, vcc
	v_lshlrev_b32_e32 v4, 2, v1
	s_mov_b32 s4, s9
	s_mov_b32 s5, s9
	v_add_co_u32_e32 v6, vcc, v3, v4
	s_mov_b32 s6, s9
	s_mov_b32 s7, s9
	v_addc_co_u32_e32 v7, vcc, 0, v2, vcc
	v_pk_mov_b32 v[2:3], s[4:5], s[4:5] op_sel:[0,1]
	v_cmp_gt_u32_e32 vcc, s8, v1
	v_pk_mov_b32 v[4:5], s[6:7], s[6:7] op_sel:[0,1]
	s_and_saveexec_b64 s[0:1], vcc
	s_cbranch_execz .LBB71_2
; %bb.1:
	global_load_dword v8, v[6:7], off
	v_pk_mov_b32 v[2:3], s[4:5], s[4:5] op_sel:[0,1]
	v_pk_mov_b32 v[4:5], s[6:7], s[6:7] op_sel:[0,1]
	s_waitcnt vmcnt(0)
	v_mov_b32_e32 v2, v8
.LBB71_2:
	s_or_b64 exec, exec, s[0:1]
	v_or_b32_e32 v8, 1, v1
	v_cmp_gt_u32_e32 vcc, s8, v8
	s_and_saveexec_b64 s[0:1], vcc
	s_cbranch_execz .LBB71_4
; %bb.3:
	global_load_dword v3, v[6:7], off offset:4
.LBB71_4:
	s_or_b64 exec, exec, s[0:1]
	v_or_b32_e32 v8, 2, v1
	v_cmp_gt_u32_e32 vcc, s8, v8
	s_and_saveexec_b64 s[0:1], vcc
	s_cbranch_execz .LBB71_6
; %bb.5:
	global_load_dword v4, v[6:7], off offset:8
.LBB71_6:
	s_or_b64 exec, exec, s[0:1]
	v_or_b32_e32 v1, 3, v1
	v_lshlrev_b32_e32 v0, 2, v0
	v_cmp_gt_u32_e32 vcc, s8, v1
	s_and_saveexec_b64 s[0:1], vcc
	s_cbranch_execz .LBB71_8
; %bb.7:
	global_load_dword v5, v[6:7], off offset:12
.LBB71_8:
	s_or_b64 exec, exec, s[0:1]
	v_lshlrev_b32_e32 v0, 2, v0
	s_waitcnt vmcnt(0)
	global_store_dwordx4 v0, v[2:5], s[2:3]
	s_endpgm
	.section	.rodata,"a",@progbits
	.p2align	6, 0x0
	.amdhsa_kernel _Z24warp_load_guarded_kernelILj1024ELj4ELj32ELN7rocprim17ROCPRIM_304000_NS16warp_load_methodE0EiEvPT3_S4_iS3_
		.amdhsa_group_segment_fixed_size 0
		.amdhsa_private_segment_fixed_size 0
		.amdhsa_kernarg_size 24
		.amdhsa_user_sgpr_count 6
		.amdhsa_user_sgpr_private_segment_buffer 1
		.amdhsa_user_sgpr_dispatch_ptr 0
		.amdhsa_user_sgpr_queue_ptr 0
		.amdhsa_user_sgpr_kernarg_segment_ptr 1
		.amdhsa_user_sgpr_dispatch_id 0
		.amdhsa_user_sgpr_flat_scratch_init 0
		.amdhsa_user_sgpr_kernarg_preload_length 0
		.amdhsa_user_sgpr_kernarg_preload_offset 0
		.amdhsa_user_sgpr_private_segment_size 0
		.amdhsa_uses_dynamic_stack 0
		.amdhsa_system_sgpr_private_segment_wavefront_offset 0
		.amdhsa_system_sgpr_workgroup_id_x 1
		.amdhsa_system_sgpr_workgroup_id_y 0
		.amdhsa_system_sgpr_workgroup_id_z 0
		.amdhsa_system_sgpr_workgroup_info 0
		.amdhsa_system_vgpr_workitem_id 0
		.amdhsa_next_free_vgpr 9
		.amdhsa_next_free_sgpr 10
		.amdhsa_accum_offset 12
		.amdhsa_reserve_vcc 1
		.amdhsa_reserve_flat_scratch 0
		.amdhsa_float_round_mode_32 0
		.amdhsa_float_round_mode_16_64 0
		.amdhsa_float_denorm_mode_32 3
		.amdhsa_float_denorm_mode_16_64 3
		.amdhsa_dx10_clamp 1
		.amdhsa_ieee_mode 1
		.amdhsa_fp16_overflow 0
		.amdhsa_tg_split 0
		.amdhsa_exception_fp_ieee_invalid_op 0
		.amdhsa_exception_fp_denorm_src 0
		.amdhsa_exception_fp_ieee_div_zero 0
		.amdhsa_exception_fp_ieee_overflow 0
		.amdhsa_exception_fp_ieee_underflow 0
		.amdhsa_exception_fp_ieee_inexact 0
		.amdhsa_exception_int_div_zero 0
	.end_amdhsa_kernel
	.section	.text._Z24warp_load_guarded_kernelILj1024ELj4ELj32ELN7rocprim17ROCPRIM_304000_NS16warp_load_methodE0EiEvPT3_S4_iS3_,"axG",@progbits,_Z24warp_load_guarded_kernelILj1024ELj4ELj32ELN7rocprim17ROCPRIM_304000_NS16warp_load_methodE0EiEvPT3_S4_iS3_,comdat
.Lfunc_end71:
	.size	_Z24warp_load_guarded_kernelILj1024ELj4ELj32ELN7rocprim17ROCPRIM_304000_NS16warp_load_methodE0EiEvPT3_S4_iS3_, .Lfunc_end71-_Z24warp_load_guarded_kernelILj1024ELj4ELj32ELN7rocprim17ROCPRIM_304000_NS16warp_load_methodE0EiEvPT3_S4_iS3_
                                        ; -- End function
	.section	.AMDGPU.csdata,"",@progbits
; Kernel info:
; codeLenInByte = 272
; NumSgprs: 14
; NumVgprs: 9
; NumAgprs: 0
; TotalNumVgprs: 9
; ScratchSize: 0
; MemoryBound: 0
; FloatMode: 240
; IeeeMode: 1
; LDSByteSize: 0 bytes/workgroup (compile time only)
; SGPRBlocks: 1
; VGPRBlocks: 1
; NumSGPRsForWavesPerEU: 14
; NumVGPRsForWavesPerEU: 9
; AccumOffset: 12
; Occupancy: 8
; WaveLimiterHint : 0
; COMPUTE_PGM_RSRC2:SCRATCH_EN: 0
; COMPUTE_PGM_RSRC2:USER_SGPR: 6
; COMPUTE_PGM_RSRC2:TRAP_HANDLER: 0
; COMPUTE_PGM_RSRC2:TGID_X_EN: 1
; COMPUTE_PGM_RSRC2:TGID_Y_EN: 0
; COMPUTE_PGM_RSRC2:TGID_Z_EN: 0
; COMPUTE_PGM_RSRC2:TIDIG_COMP_CNT: 0
; COMPUTE_PGM_RSRC3_GFX90A:ACCUM_OFFSET: 2
; COMPUTE_PGM_RSRC3_GFX90A:TG_SPLIT: 0
	.section	.text._Z24warp_load_guarded_kernelILj1024ELj4ELj8ELN7rocprim17ROCPRIM_304000_NS16warp_load_methodE3EiEvPT3_S4_iS3_,"axG",@progbits,_Z24warp_load_guarded_kernelILj1024ELj4ELj8ELN7rocprim17ROCPRIM_304000_NS16warp_load_methodE3EiEvPT3_S4_iS3_,comdat
	.protected	_Z24warp_load_guarded_kernelILj1024ELj4ELj8ELN7rocprim17ROCPRIM_304000_NS16warp_load_methodE3EiEvPT3_S4_iS3_ ; -- Begin function _Z24warp_load_guarded_kernelILj1024ELj4ELj8ELN7rocprim17ROCPRIM_304000_NS16warp_load_methodE3EiEvPT3_S4_iS3_
	.globl	_Z24warp_load_guarded_kernelILj1024ELj4ELj8ELN7rocprim17ROCPRIM_304000_NS16warp_load_methodE3EiEvPT3_S4_iS3_
	.p2align	8
	.type	_Z24warp_load_guarded_kernelILj1024ELj4ELj8ELN7rocprim17ROCPRIM_304000_NS16warp_load_methodE3EiEvPT3_S4_iS3_,@function
_Z24warp_load_guarded_kernelILj1024ELj4ELj8ELN7rocprim17ROCPRIM_304000_NS16warp_load_methodE3EiEvPT3_S4_iS3_: ; @_Z24warp_load_guarded_kernelILj1024ELj4ELj8ELN7rocprim17ROCPRIM_304000_NS16warp_load_methodE3EiEvPT3_S4_iS3_
; %bb.0:
	s_load_dwordx4 s[0:3], s[4:5], 0x0
	s_load_dwordx2 s[8:9], s[4:5], 0x10
	v_lshrrev_b32_e32 v1, 3, v0
	v_mbcnt_lo_u32_b32 v4, -1, 0
	v_lshlrev_b32_e32 v2, 7, v1
	v_mbcnt_hi_u32_b32 v4, -1, v4
	s_waitcnt lgkmcnt(0)
	v_mov_b32_e32 v3, s1
	v_add_co_u32_e32 v2, vcc, s0, v2
	v_and_b32_e32 v8, 7, v4
	v_addc_co_u32_e32 v3, vcc, 0, v3, vcc
	v_lshlrev_b32_e32 v9, 2, v8
	s_mov_b32 s4, s9
	s_mov_b32 s5, s9
	v_add_co_u32_e32 v6, vcc, v2, v9
	s_mov_b32 s6, s9
	s_mov_b32 s7, s9
	v_addc_co_u32_e32 v7, vcc, 0, v3, vcc
	v_pk_mov_b32 v[2:3], s[4:5], s[4:5] op_sel:[0,1]
	v_cmp_gt_u32_e32 vcc, s8, v8
	v_pk_mov_b32 v[4:5], s[6:7], s[6:7] op_sel:[0,1]
	v_mov_b32_e32 v10, s9
	s_and_saveexec_b64 s[0:1], vcc
	s_cbranch_execz .LBB72_2
; %bb.1:
	global_load_dword v10, v[6:7], off
	v_pk_mov_b32 v[2:3], s[4:5], s[4:5] op_sel:[0,1]
	v_pk_mov_b32 v[4:5], s[6:7], s[6:7] op_sel:[0,1]
                                        ; kill: def $vgpr2 killed $vgpr10 killed $exec
.LBB72_2:
	s_or_b64 exec, exec, s[0:1]
	v_or_b32_e32 v2, 8, v8
	v_cmp_gt_u32_e32 vcc, s8, v2
	s_and_saveexec_b64 s[0:1], vcc
	s_cbranch_execz .LBB72_4
; %bb.3:
	global_load_dword v3, v[6:7], off offset:32
.LBB72_4:
	s_or_b64 exec, exec, s[0:1]
	v_or_b32_e32 v2, 16, v8
	v_cmp_gt_u32_e32 vcc, s8, v2
	s_and_saveexec_b64 s[0:1], vcc
	s_cbranch_execz .LBB72_6
; %bb.5:
	global_load_dword v4, v[6:7], off offset:64
.LBB72_6:
	;; [unrolled: 8-line block ×3, first 2 shown]
	s_or_b64 exec, exec, s[0:1]
	v_lshl_or_b32 v1, v1, 7, v9
	s_waitcnt vmcnt(0)
	ds_write2_b32 v1, v10, v3 offset1:8
	ds_write2_b32 v1, v4, v5 offset0:16 offset1:24
	v_mad_u32_u24 v1, v8, 12, v1
	; wave barrier
	ds_read_b128 v[2:5], v1
	v_lshlrev_b32_e32 v0, 4, v0
	s_waitcnt lgkmcnt(0)
	global_store_dwordx4 v0, v[2:5], s[2:3]
	s_endpgm
	.section	.rodata,"a",@progbits
	.p2align	6, 0x0
	.amdhsa_kernel _Z24warp_load_guarded_kernelILj1024ELj4ELj8ELN7rocprim17ROCPRIM_304000_NS16warp_load_methodE3EiEvPT3_S4_iS3_
		.amdhsa_group_segment_fixed_size 16384
		.amdhsa_private_segment_fixed_size 0
		.amdhsa_kernarg_size 24
		.amdhsa_user_sgpr_count 6
		.amdhsa_user_sgpr_private_segment_buffer 1
		.amdhsa_user_sgpr_dispatch_ptr 0
		.amdhsa_user_sgpr_queue_ptr 0
		.amdhsa_user_sgpr_kernarg_segment_ptr 1
		.amdhsa_user_sgpr_dispatch_id 0
		.amdhsa_user_sgpr_flat_scratch_init 0
		.amdhsa_user_sgpr_kernarg_preload_length 0
		.amdhsa_user_sgpr_kernarg_preload_offset 0
		.amdhsa_user_sgpr_private_segment_size 0
		.amdhsa_uses_dynamic_stack 0
		.amdhsa_system_sgpr_private_segment_wavefront_offset 0
		.amdhsa_system_sgpr_workgroup_id_x 1
		.amdhsa_system_sgpr_workgroup_id_y 0
		.amdhsa_system_sgpr_workgroup_id_z 0
		.amdhsa_system_sgpr_workgroup_info 0
		.amdhsa_system_vgpr_workitem_id 0
		.amdhsa_next_free_vgpr 11
		.amdhsa_next_free_sgpr 10
		.amdhsa_accum_offset 12
		.amdhsa_reserve_vcc 1
		.amdhsa_reserve_flat_scratch 0
		.amdhsa_float_round_mode_32 0
		.amdhsa_float_round_mode_16_64 0
		.amdhsa_float_denorm_mode_32 3
		.amdhsa_float_denorm_mode_16_64 3
		.amdhsa_dx10_clamp 1
		.amdhsa_ieee_mode 1
		.amdhsa_fp16_overflow 0
		.amdhsa_tg_split 0
		.amdhsa_exception_fp_ieee_invalid_op 0
		.amdhsa_exception_fp_denorm_src 0
		.amdhsa_exception_fp_ieee_div_zero 0
		.amdhsa_exception_fp_ieee_overflow 0
		.amdhsa_exception_fp_ieee_underflow 0
		.amdhsa_exception_fp_ieee_inexact 0
		.amdhsa_exception_int_div_zero 0
	.end_amdhsa_kernel
	.section	.text._Z24warp_load_guarded_kernelILj1024ELj4ELj8ELN7rocprim17ROCPRIM_304000_NS16warp_load_methodE3EiEvPT3_S4_iS3_,"axG",@progbits,_Z24warp_load_guarded_kernelILj1024ELj4ELj8ELN7rocprim17ROCPRIM_304000_NS16warp_load_methodE3EiEvPT3_S4_iS3_,comdat
.Lfunc_end72:
	.size	_Z24warp_load_guarded_kernelILj1024ELj4ELj8ELN7rocprim17ROCPRIM_304000_NS16warp_load_methodE3EiEvPT3_S4_iS3_, .Lfunc_end72-_Z24warp_load_guarded_kernelILj1024ELj4ELj8ELN7rocprim17ROCPRIM_304000_NS16warp_load_methodE3EiEvPT3_S4_iS3_
                                        ; -- End function
	.section	.AMDGPU.csdata,"",@progbits
; Kernel info:
; codeLenInByte = 296
; NumSgprs: 14
; NumVgprs: 11
; NumAgprs: 0
; TotalNumVgprs: 11
; ScratchSize: 0
; MemoryBound: 0
; FloatMode: 240
; IeeeMode: 1
; LDSByteSize: 16384 bytes/workgroup (compile time only)
; SGPRBlocks: 1
; VGPRBlocks: 1
; NumSGPRsForWavesPerEU: 14
; NumVGPRsForWavesPerEU: 11
; AccumOffset: 12
; Occupancy: 8
; WaveLimiterHint : 0
; COMPUTE_PGM_RSRC2:SCRATCH_EN: 0
; COMPUTE_PGM_RSRC2:USER_SGPR: 6
; COMPUTE_PGM_RSRC2:TRAP_HANDLER: 0
; COMPUTE_PGM_RSRC2:TGID_X_EN: 1
; COMPUTE_PGM_RSRC2:TGID_Y_EN: 0
; COMPUTE_PGM_RSRC2:TGID_Z_EN: 0
; COMPUTE_PGM_RSRC2:TIDIG_COMP_CNT: 0
; COMPUTE_PGM_RSRC3_GFX90A:ACCUM_OFFSET: 2
; COMPUTE_PGM_RSRC3_GFX90A:TG_SPLIT: 0
	.section	.text._Z24warp_load_guarded_kernelILj1024ELj4ELj8ELN7rocprim17ROCPRIM_304000_NS16warp_load_methodE2EiEvPT3_S4_iS3_,"axG",@progbits,_Z24warp_load_guarded_kernelILj1024ELj4ELj8ELN7rocprim17ROCPRIM_304000_NS16warp_load_methodE2EiEvPT3_S4_iS3_,comdat
	.protected	_Z24warp_load_guarded_kernelILj1024ELj4ELj8ELN7rocprim17ROCPRIM_304000_NS16warp_load_methodE2EiEvPT3_S4_iS3_ ; -- Begin function _Z24warp_load_guarded_kernelILj1024ELj4ELj8ELN7rocprim17ROCPRIM_304000_NS16warp_load_methodE2EiEvPT3_S4_iS3_
	.globl	_Z24warp_load_guarded_kernelILj1024ELj4ELj8ELN7rocprim17ROCPRIM_304000_NS16warp_load_methodE2EiEvPT3_S4_iS3_
	.p2align	8
	.type	_Z24warp_load_guarded_kernelILj1024ELj4ELj8ELN7rocprim17ROCPRIM_304000_NS16warp_load_methodE2EiEvPT3_S4_iS3_,@function
_Z24warp_load_guarded_kernelILj1024ELj4ELj8ELN7rocprim17ROCPRIM_304000_NS16warp_load_methodE2EiEvPT3_S4_iS3_: ; @_Z24warp_load_guarded_kernelILj1024ELj4ELj8ELN7rocprim17ROCPRIM_304000_NS16warp_load_methodE2EiEvPT3_S4_iS3_
; %bb.0:
	s_load_dwordx4 s[0:3], s[4:5], 0x0
	s_load_dwordx2 s[8:9], s[4:5], 0x10
	v_lshlrev_b32_e32 v1, 4, v0
	v_and_b32_e32 v1, 0x3f80, v1
	s_waitcnt lgkmcnt(0)
	v_add_co_u32_e32 v3, vcc, s0, v1
	v_mbcnt_lo_u32_b32 v1, -1, 0
	v_mbcnt_hi_u32_b32 v1, -1, v1
	v_lshlrev_b32_e32 v1, 2, v1
	v_mov_b32_e32 v2, s1
	v_and_b32_e32 v1, 28, v1
	v_addc_co_u32_e32 v2, vcc, 0, v2, vcc
	v_lshlrev_b32_e32 v4, 2, v1
	s_mov_b32 s4, s9
	s_mov_b32 s5, s9
	v_add_co_u32_e32 v6, vcc, v3, v4
	s_mov_b32 s6, s9
	s_mov_b32 s7, s9
	v_addc_co_u32_e32 v7, vcc, 0, v2, vcc
	v_pk_mov_b32 v[2:3], s[4:5], s[4:5] op_sel:[0,1]
	v_cmp_gt_u32_e32 vcc, s8, v1
	v_pk_mov_b32 v[4:5], s[6:7], s[6:7] op_sel:[0,1]
	s_and_saveexec_b64 s[0:1], vcc
	s_cbranch_execz .LBB73_2
; %bb.1:
	global_load_dword v8, v[6:7], off
	v_pk_mov_b32 v[2:3], s[4:5], s[4:5] op_sel:[0,1]
	v_pk_mov_b32 v[4:5], s[6:7], s[6:7] op_sel:[0,1]
	s_waitcnt vmcnt(0)
	v_mov_b32_e32 v2, v8
.LBB73_2:
	s_or_b64 exec, exec, s[0:1]
	v_or_b32_e32 v8, 1, v1
	v_cmp_gt_u32_e32 vcc, s8, v8
	s_and_saveexec_b64 s[0:1], vcc
	s_cbranch_execz .LBB73_4
; %bb.3:
	global_load_dword v3, v[6:7], off offset:4
.LBB73_4:
	s_or_b64 exec, exec, s[0:1]
	v_or_b32_e32 v8, 2, v1
	v_cmp_gt_u32_e32 vcc, s8, v8
	s_and_saveexec_b64 s[0:1], vcc
	s_cbranch_execz .LBB73_6
; %bb.5:
	global_load_dword v4, v[6:7], off offset:8
.LBB73_6:
	s_or_b64 exec, exec, s[0:1]
	v_or_b32_e32 v1, 3, v1
	v_lshlrev_b32_e32 v0, 2, v0
	v_cmp_gt_u32_e32 vcc, s8, v1
	s_and_saveexec_b64 s[0:1], vcc
	s_cbranch_execz .LBB73_8
; %bb.7:
	global_load_dword v5, v[6:7], off offset:12
.LBB73_8:
	s_or_b64 exec, exec, s[0:1]
	v_lshlrev_b32_e32 v0, 2, v0
	s_waitcnt vmcnt(0)
	global_store_dwordx4 v0, v[2:5], s[2:3]
	s_endpgm
	.section	.rodata,"a",@progbits
	.p2align	6, 0x0
	.amdhsa_kernel _Z24warp_load_guarded_kernelILj1024ELj4ELj8ELN7rocprim17ROCPRIM_304000_NS16warp_load_methodE2EiEvPT3_S4_iS3_
		.amdhsa_group_segment_fixed_size 0
		.amdhsa_private_segment_fixed_size 0
		.amdhsa_kernarg_size 24
		.amdhsa_user_sgpr_count 6
		.amdhsa_user_sgpr_private_segment_buffer 1
		.amdhsa_user_sgpr_dispatch_ptr 0
		.amdhsa_user_sgpr_queue_ptr 0
		.amdhsa_user_sgpr_kernarg_segment_ptr 1
		.amdhsa_user_sgpr_dispatch_id 0
		.amdhsa_user_sgpr_flat_scratch_init 0
		.amdhsa_user_sgpr_kernarg_preload_length 0
		.amdhsa_user_sgpr_kernarg_preload_offset 0
		.amdhsa_user_sgpr_private_segment_size 0
		.amdhsa_uses_dynamic_stack 0
		.amdhsa_system_sgpr_private_segment_wavefront_offset 0
		.amdhsa_system_sgpr_workgroup_id_x 1
		.amdhsa_system_sgpr_workgroup_id_y 0
		.amdhsa_system_sgpr_workgroup_id_z 0
		.amdhsa_system_sgpr_workgroup_info 0
		.amdhsa_system_vgpr_workitem_id 0
		.amdhsa_next_free_vgpr 9
		.amdhsa_next_free_sgpr 10
		.amdhsa_accum_offset 12
		.amdhsa_reserve_vcc 1
		.amdhsa_reserve_flat_scratch 0
		.amdhsa_float_round_mode_32 0
		.amdhsa_float_round_mode_16_64 0
		.amdhsa_float_denorm_mode_32 3
		.amdhsa_float_denorm_mode_16_64 3
		.amdhsa_dx10_clamp 1
		.amdhsa_ieee_mode 1
		.amdhsa_fp16_overflow 0
		.amdhsa_tg_split 0
		.amdhsa_exception_fp_ieee_invalid_op 0
		.amdhsa_exception_fp_denorm_src 0
		.amdhsa_exception_fp_ieee_div_zero 0
		.amdhsa_exception_fp_ieee_overflow 0
		.amdhsa_exception_fp_ieee_underflow 0
		.amdhsa_exception_fp_ieee_inexact 0
		.amdhsa_exception_int_div_zero 0
	.end_amdhsa_kernel
	.section	.text._Z24warp_load_guarded_kernelILj1024ELj4ELj8ELN7rocprim17ROCPRIM_304000_NS16warp_load_methodE2EiEvPT3_S4_iS3_,"axG",@progbits,_Z24warp_load_guarded_kernelILj1024ELj4ELj8ELN7rocprim17ROCPRIM_304000_NS16warp_load_methodE2EiEvPT3_S4_iS3_,comdat
.Lfunc_end73:
	.size	_Z24warp_load_guarded_kernelILj1024ELj4ELj8ELN7rocprim17ROCPRIM_304000_NS16warp_load_methodE2EiEvPT3_S4_iS3_, .Lfunc_end73-_Z24warp_load_guarded_kernelILj1024ELj4ELj8ELN7rocprim17ROCPRIM_304000_NS16warp_load_methodE2EiEvPT3_S4_iS3_
                                        ; -- End function
	.section	.AMDGPU.csdata,"",@progbits
; Kernel info:
; codeLenInByte = 268
; NumSgprs: 14
; NumVgprs: 9
; NumAgprs: 0
; TotalNumVgprs: 9
; ScratchSize: 0
; MemoryBound: 0
; FloatMode: 240
; IeeeMode: 1
; LDSByteSize: 0 bytes/workgroup (compile time only)
; SGPRBlocks: 1
; VGPRBlocks: 1
; NumSGPRsForWavesPerEU: 14
; NumVGPRsForWavesPerEU: 9
; AccumOffset: 12
; Occupancy: 8
; WaveLimiterHint : 0
; COMPUTE_PGM_RSRC2:SCRATCH_EN: 0
; COMPUTE_PGM_RSRC2:USER_SGPR: 6
; COMPUTE_PGM_RSRC2:TRAP_HANDLER: 0
; COMPUTE_PGM_RSRC2:TGID_X_EN: 1
; COMPUTE_PGM_RSRC2:TGID_Y_EN: 0
; COMPUTE_PGM_RSRC2:TGID_Z_EN: 0
; COMPUTE_PGM_RSRC2:TIDIG_COMP_CNT: 0
; COMPUTE_PGM_RSRC3_GFX90A:ACCUM_OFFSET: 2
; COMPUTE_PGM_RSRC3_GFX90A:TG_SPLIT: 0
	.section	.text._Z24warp_load_guarded_kernelILj1024ELj4ELj8ELN7rocprim17ROCPRIM_304000_NS16warp_load_methodE1EiEvPT3_S4_iS3_,"axG",@progbits,_Z24warp_load_guarded_kernelILj1024ELj4ELj8ELN7rocprim17ROCPRIM_304000_NS16warp_load_methodE1EiEvPT3_S4_iS3_,comdat
	.protected	_Z24warp_load_guarded_kernelILj1024ELj4ELj8ELN7rocprim17ROCPRIM_304000_NS16warp_load_methodE1EiEvPT3_S4_iS3_ ; -- Begin function _Z24warp_load_guarded_kernelILj1024ELj4ELj8ELN7rocprim17ROCPRIM_304000_NS16warp_load_methodE1EiEvPT3_S4_iS3_
	.globl	_Z24warp_load_guarded_kernelILj1024ELj4ELj8ELN7rocprim17ROCPRIM_304000_NS16warp_load_methodE1EiEvPT3_S4_iS3_
	.p2align	8
	.type	_Z24warp_load_guarded_kernelILj1024ELj4ELj8ELN7rocprim17ROCPRIM_304000_NS16warp_load_methodE1EiEvPT3_S4_iS3_,@function
_Z24warp_load_guarded_kernelILj1024ELj4ELj8ELN7rocprim17ROCPRIM_304000_NS16warp_load_methodE1EiEvPT3_S4_iS3_: ; @_Z24warp_load_guarded_kernelILj1024ELj4ELj8ELN7rocprim17ROCPRIM_304000_NS16warp_load_methodE1EiEvPT3_S4_iS3_
; %bb.0:
	s_load_dwordx4 s[0:3], s[4:5], 0x0
	s_load_dwordx2 s[8:9], s[4:5], 0x10
	v_lshlrev_b32_e32 v1, 4, v0
	v_and_b32_e32 v1, 0x3f80, v1
	s_waitcnt lgkmcnt(0)
	v_add_co_u32_e32 v3, vcc, s0, v1
	v_mbcnt_lo_u32_b32 v1, -1, 0
	v_mbcnt_hi_u32_b32 v1, -1, v1
	v_mov_b32_e32 v2, s1
	v_and_b32_e32 v1, 7, v1
	v_addc_co_u32_e32 v2, vcc, 0, v2, vcc
	v_lshlrev_b32_e32 v4, 2, v1
	s_mov_b32 s4, s9
	s_mov_b32 s5, s9
	v_add_co_u32_e32 v6, vcc, v3, v4
	s_mov_b32 s6, s9
	s_mov_b32 s7, s9
	v_addc_co_u32_e32 v7, vcc, 0, v2, vcc
	v_pk_mov_b32 v[2:3], s[4:5], s[4:5] op_sel:[0,1]
	v_cmp_gt_u32_e32 vcc, s8, v1
	v_pk_mov_b32 v[4:5], s[6:7], s[6:7] op_sel:[0,1]
	s_and_saveexec_b64 s[0:1], vcc
	s_cbranch_execz .LBB74_2
; %bb.1:
	global_load_dword v8, v[6:7], off
	v_pk_mov_b32 v[2:3], s[4:5], s[4:5] op_sel:[0,1]
	v_pk_mov_b32 v[4:5], s[6:7], s[6:7] op_sel:[0,1]
	s_waitcnt vmcnt(0)
	v_mov_b32_e32 v2, v8
.LBB74_2:
	s_or_b64 exec, exec, s[0:1]
	v_or_b32_e32 v8, 8, v1
	v_cmp_gt_u32_e32 vcc, s8, v8
	s_and_saveexec_b64 s[0:1], vcc
	s_cbranch_execz .LBB74_4
; %bb.3:
	global_load_dword v3, v[6:7], off offset:32
.LBB74_4:
	s_or_b64 exec, exec, s[0:1]
	v_or_b32_e32 v8, 16, v1
	v_cmp_gt_u32_e32 vcc, s8, v8
	s_and_saveexec_b64 s[0:1], vcc
	s_cbranch_execz .LBB74_6
; %bb.5:
	global_load_dword v4, v[6:7], off offset:64
.LBB74_6:
	s_or_b64 exec, exec, s[0:1]
	v_or_b32_e32 v1, 24, v1
	v_lshlrev_b32_e32 v0, 2, v0
	v_cmp_gt_u32_e32 vcc, s8, v1
	s_and_saveexec_b64 s[0:1], vcc
	s_cbranch_execz .LBB74_8
; %bb.7:
	global_load_dword v5, v[6:7], off offset:96
.LBB74_8:
	s_or_b64 exec, exec, s[0:1]
	v_lshlrev_b32_e32 v0, 2, v0
	s_waitcnt vmcnt(0)
	global_store_dwordx4 v0, v[2:5], s[2:3]
	s_endpgm
	.section	.rodata,"a",@progbits
	.p2align	6, 0x0
	.amdhsa_kernel _Z24warp_load_guarded_kernelILj1024ELj4ELj8ELN7rocprim17ROCPRIM_304000_NS16warp_load_methodE1EiEvPT3_S4_iS3_
		.amdhsa_group_segment_fixed_size 0
		.amdhsa_private_segment_fixed_size 0
		.amdhsa_kernarg_size 24
		.amdhsa_user_sgpr_count 6
		.amdhsa_user_sgpr_private_segment_buffer 1
		.amdhsa_user_sgpr_dispatch_ptr 0
		.amdhsa_user_sgpr_queue_ptr 0
		.amdhsa_user_sgpr_kernarg_segment_ptr 1
		.amdhsa_user_sgpr_dispatch_id 0
		.amdhsa_user_sgpr_flat_scratch_init 0
		.amdhsa_user_sgpr_kernarg_preload_length 0
		.amdhsa_user_sgpr_kernarg_preload_offset 0
		.amdhsa_user_sgpr_private_segment_size 0
		.amdhsa_uses_dynamic_stack 0
		.amdhsa_system_sgpr_private_segment_wavefront_offset 0
		.amdhsa_system_sgpr_workgroup_id_x 1
		.amdhsa_system_sgpr_workgroup_id_y 0
		.amdhsa_system_sgpr_workgroup_id_z 0
		.amdhsa_system_sgpr_workgroup_info 0
		.amdhsa_system_vgpr_workitem_id 0
		.amdhsa_next_free_vgpr 9
		.amdhsa_next_free_sgpr 10
		.amdhsa_accum_offset 12
		.amdhsa_reserve_vcc 1
		.amdhsa_reserve_flat_scratch 0
		.amdhsa_float_round_mode_32 0
		.amdhsa_float_round_mode_16_64 0
		.amdhsa_float_denorm_mode_32 3
		.amdhsa_float_denorm_mode_16_64 3
		.amdhsa_dx10_clamp 1
		.amdhsa_ieee_mode 1
		.amdhsa_fp16_overflow 0
		.amdhsa_tg_split 0
		.amdhsa_exception_fp_ieee_invalid_op 0
		.amdhsa_exception_fp_denorm_src 0
		.amdhsa_exception_fp_ieee_div_zero 0
		.amdhsa_exception_fp_ieee_overflow 0
		.amdhsa_exception_fp_ieee_underflow 0
		.amdhsa_exception_fp_ieee_inexact 0
		.amdhsa_exception_int_div_zero 0
	.end_amdhsa_kernel
	.section	.text._Z24warp_load_guarded_kernelILj1024ELj4ELj8ELN7rocprim17ROCPRIM_304000_NS16warp_load_methodE1EiEvPT3_S4_iS3_,"axG",@progbits,_Z24warp_load_guarded_kernelILj1024ELj4ELj8ELN7rocprim17ROCPRIM_304000_NS16warp_load_methodE1EiEvPT3_S4_iS3_,comdat
.Lfunc_end74:
	.size	_Z24warp_load_guarded_kernelILj1024ELj4ELj8ELN7rocprim17ROCPRIM_304000_NS16warp_load_methodE1EiEvPT3_S4_iS3_, .Lfunc_end74-_Z24warp_load_guarded_kernelILj1024ELj4ELj8ELN7rocprim17ROCPRIM_304000_NS16warp_load_methodE1EiEvPT3_S4_iS3_
                                        ; -- End function
	.section	.AMDGPU.csdata,"",@progbits
; Kernel info:
; codeLenInByte = 264
; NumSgprs: 14
; NumVgprs: 9
; NumAgprs: 0
; TotalNumVgprs: 9
; ScratchSize: 0
; MemoryBound: 0
; FloatMode: 240
; IeeeMode: 1
; LDSByteSize: 0 bytes/workgroup (compile time only)
; SGPRBlocks: 1
; VGPRBlocks: 1
; NumSGPRsForWavesPerEU: 14
; NumVGPRsForWavesPerEU: 9
; AccumOffset: 12
; Occupancy: 8
; WaveLimiterHint : 0
; COMPUTE_PGM_RSRC2:SCRATCH_EN: 0
; COMPUTE_PGM_RSRC2:USER_SGPR: 6
; COMPUTE_PGM_RSRC2:TRAP_HANDLER: 0
; COMPUTE_PGM_RSRC2:TGID_X_EN: 1
; COMPUTE_PGM_RSRC2:TGID_Y_EN: 0
; COMPUTE_PGM_RSRC2:TGID_Z_EN: 0
; COMPUTE_PGM_RSRC2:TIDIG_COMP_CNT: 0
; COMPUTE_PGM_RSRC3_GFX90A:ACCUM_OFFSET: 2
; COMPUTE_PGM_RSRC3_GFX90A:TG_SPLIT: 0
	.section	.text._Z24warp_load_guarded_kernelILj1024ELj4ELj8ELN7rocprim17ROCPRIM_304000_NS16warp_load_methodE0EiEvPT3_S4_iS3_,"axG",@progbits,_Z24warp_load_guarded_kernelILj1024ELj4ELj8ELN7rocprim17ROCPRIM_304000_NS16warp_load_methodE0EiEvPT3_S4_iS3_,comdat
	.protected	_Z24warp_load_guarded_kernelILj1024ELj4ELj8ELN7rocprim17ROCPRIM_304000_NS16warp_load_methodE0EiEvPT3_S4_iS3_ ; -- Begin function _Z24warp_load_guarded_kernelILj1024ELj4ELj8ELN7rocprim17ROCPRIM_304000_NS16warp_load_methodE0EiEvPT3_S4_iS3_
	.globl	_Z24warp_load_guarded_kernelILj1024ELj4ELj8ELN7rocprim17ROCPRIM_304000_NS16warp_load_methodE0EiEvPT3_S4_iS3_
	.p2align	8
	.type	_Z24warp_load_guarded_kernelILj1024ELj4ELj8ELN7rocprim17ROCPRIM_304000_NS16warp_load_methodE0EiEvPT3_S4_iS3_,@function
_Z24warp_load_guarded_kernelILj1024ELj4ELj8ELN7rocprim17ROCPRIM_304000_NS16warp_load_methodE0EiEvPT3_S4_iS3_: ; @_Z24warp_load_guarded_kernelILj1024ELj4ELj8ELN7rocprim17ROCPRIM_304000_NS16warp_load_methodE0EiEvPT3_S4_iS3_
; %bb.0:
	s_load_dwordx4 s[0:3], s[4:5], 0x0
	s_load_dwordx2 s[8:9], s[4:5], 0x10
	v_lshlrev_b32_e32 v1, 4, v0
	v_and_b32_e32 v1, 0x3f80, v1
	s_waitcnt lgkmcnt(0)
	v_add_co_u32_e32 v3, vcc, s0, v1
	v_mbcnt_lo_u32_b32 v1, -1, 0
	v_mbcnt_hi_u32_b32 v1, -1, v1
	v_lshlrev_b32_e32 v1, 2, v1
	v_mov_b32_e32 v2, s1
	v_and_b32_e32 v1, 28, v1
	v_addc_co_u32_e32 v2, vcc, 0, v2, vcc
	v_lshlrev_b32_e32 v4, 2, v1
	s_mov_b32 s4, s9
	s_mov_b32 s5, s9
	v_add_co_u32_e32 v6, vcc, v3, v4
	s_mov_b32 s6, s9
	s_mov_b32 s7, s9
	v_addc_co_u32_e32 v7, vcc, 0, v2, vcc
	v_pk_mov_b32 v[2:3], s[4:5], s[4:5] op_sel:[0,1]
	v_cmp_gt_u32_e32 vcc, s8, v1
	v_pk_mov_b32 v[4:5], s[6:7], s[6:7] op_sel:[0,1]
	s_and_saveexec_b64 s[0:1], vcc
	s_cbranch_execz .LBB75_2
; %bb.1:
	global_load_dword v8, v[6:7], off
	v_pk_mov_b32 v[2:3], s[4:5], s[4:5] op_sel:[0,1]
	v_pk_mov_b32 v[4:5], s[6:7], s[6:7] op_sel:[0,1]
	s_waitcnt vmcnt(0)
	v_mov_b32_e32 v2, v8
.LBB75_2:
	s_or_b64 exec, exec, s[0:1]
	v_or_b32_e32 v8, 1, v1
	v_cmp_gt_u32_e32 vcc, s8, v8
	s_and_saveexec_b64 s[0:1], vcc
	s_cbranch_execz .LBB75_4
; %bb.3:
	global_load_dword v3, v[6:7], off offset:4
.LBB75_4:
	s_or_b64 exec, exec, s[0:1]
	v_or_b32_e32 v8, 2, v1
	v_cmp_gt_u32_e32 vcc, s8, v8
	s_and_saveexec_b64 s[0:1], vcc
	s_cbranch_execz .LBB75_6
; %bb.5:
	global_load_dword v4, v[6:7], off offset:8
.LBB75_6:
	s_or_b64 exec, exec, s[0:1]
	v_or_b32_e32 v1, 3, v1
	v_lshlrev_b32_e32 v0, 2, v0
	v_cmp_gt_u32_e32 vcc, s8, v1
	s_and_saveexec_b64 s[0:1], vcc
	s_cbranch_execz .LBB75_8
; %bb.7:
	global_load_dword v5, v[6:7], off offset:12
.LBB75_8:
	s_or_b64 exec, exec, s[0:1]
	v_lshlrev_b32_e32 v0, 2, v0
	s_waitcnt vmcnt(0)
	global_store_dwordx4 v0, v[2:5], s[2:3]
	s_endpgm
	.section	.rodata,"a",@progbits
	.p2align	6, 0x0
	.amdhsa_kernel _Z24warp_load_guarded_kernelILj1024ELj4ELj8ELN7rocprim17ROCPRIM_304000_NS16warp_load_methodE0EiEvPT3_S4_iS3_
		.amdhsa_group_segment_fixed_size 0
		.amdhsa_private_segment_fixed_size 0
		.amdhsa_kernarg_size 24
		.amdhsa_user_sgpr_count 6
		.amdhsa_user_sgpr_private_segment_buffer 1
		.amdhsa_user_sgpr_dispatch_ptr 0
		.amdhsa_user_sgpr_queue_ptr 0
		.amdhsa_user_sgpr_kernarg_segment_ptr 1
		.amdhsa_user_sgpr_dispatch_id 0
		.amdhsa_user_sgpr_flat_scratch_init 0
		.amdhsa_user_sgpr_kernarg_preload_length 0
		.amdhsa_user_sgpr_kernarg_preload_offset 0
		.amdhsa_user_sgpr_private_segment_size 0
		.amdhsa_uses_dynamic_stack 0
		.amdhsa_system_sgpr_private_segment_wavefront_offset 0
		.amdhsa_system_sgpr_workgroup_id_x 1
		.amdhsa_system_sgpr_workgroup_id_y 0
		.amdhsa_system_sgpr_workgroup_id_z 0
		.amdhsa_system_sgpr_workgroup_info 0
		.amdhsa_system_vgpr_workitem_id 0
		.amdhsa_next_free_vgpr 9
		.amdhsa_next_free_sgpr 10
		.amdhsa_accum_offset 12
		.amdhsa_reserve_vcc 1
		.amdhsa_reserve_flat_scratch 0
		.amdhsa_float_round_mode_32 0
		.amdhsa_float_round_mode_16_64 0
		.amdhsa_float_denorm_mode_32 3
		.amdhsa_float_denorm_mode_16_64 3
		.amdhsa_dx10_clamp 1
		.amdhsa_ieee_mode 1
		.amdhsa_fp16_overflow 0
		.amdhsa_tg_split 0
		.amdhsa_exception_fp_ieee_invalid_op 0
		.amdhsa_exception_fp_denorm_src 0
		.amdhsa_exception_fp_ieee_div_zero 0
		.amdhsa_exception_fp_ieee_overflow 0
		.amdhsa_exception_fp_ieee_underflow 0
		.amdhsa_exception_fp_ieee_inexact 0
		.amdhsa_exception_int_div_zero 0
	.end_amdhsa_kernel
	.section	.text._Z24warp_load_guarded_kernelILj1024ELj4ELj8ELN7rocprim17ROCPRIM_304000_NS16warp_load_methodE0EiEvPT3_S4_iS3_,"axG",@progbits,_Z24warp_load_guarded_kernelILj1024ELj4ELj8ELN7rocprim17ROCPRIM_304000_NS16warp_load_methodE0EiEvPT3_S4_iS3_,comdat
.Lfunc_end75:
	.size	_Z24warp_load_guarded_kernelILj1024ELj4ELj8ELN7rocprim17ROCPRIM_304000_NS16warp_load_methodE0EiEvPT3_S4_iS3_, .Lfunc_end75-_Z24warp_load_guarded_kernelILj1024ELj4ELj8ELN7rocprim17ROCPRIM_304000_NS16warp_load_methodE0EiEvPT3_S4_iS3_
                                        ; -- End function
	.section	.AMDGPU.csdata,"",@progbits
; Kernel info:
; codeLenInByte = 268
; NumSgprs: 14
; NumVgprs: 9
; NumAgprs: 0
; TotalNumVgprs: 9
; ScratchSize: 0
; MemoryBound: 0
; FloatMode: 240
; IeeeMode: 1
; LDSByteSize: 0 bytes/workgroup (compile time only)
; SGPRBlocks: 1
; VGPRBlocks: 1
; NumSGPRsForWavesPerEU: 14
; NumVGPRsForWavesPerEU: 9
; AccumOffset: 12
; Occupancy: 8
; WaveLimiterHint : 0
; COMPUTE_PGM_RSRC2:SCRATCH_EN: 0
; COMPUTE_PGM_RSRC2:USER_SGPR: 6
; COMPUTE_PGM_RSRC2:TRAP_HANDLER: 0
; COMPUTE_PGM_RSRC2:TGID_X_EN: 1
; COMPUTE_PGM_RSRC2:TGID_Y_EN: 0
; COMPUTE_PGM_RSRC2:TGID_Z_EN: 0
; COMPUTE_PGM_RSRC2:TIDIG_COMP_CNT: 0
; COMPUTE_PGM_RSRC3_GFX90A:ACCUM_OFFSET: 2
; COMPUTE_PGM_RSRC3_GFX90A:TG_SPLIT: 0
	.text
	.p2alignl 6, 3212836864
	.fill 256, 4, 3212836864
	.type	__hip_cuid_4654f6b022a19372,@object ; @__hip_cuid_4654f6b022a19372
	.section	.bss,"aw",@nobits
	.globl	__hip_cuid_4654f6b022a19372
__hip_cuid_4654f6b022a19372:
	.byte	0                               ; 0x0
	.size	__hip_cuid_4654f6b022a19372, 1

	.ident	"AMD clang version 19.0.0git (https://github.com/RadeonOpenCompute/llvm-project roc-6.4.0 25133 c7fe45cf4b819c5991fe208aaa96edf142730f1d)"
	.section	".note.GNU-stack","",@progbits
	.addrsig
	.addrsig_sym __hip_cuid_4654f6b022a19372
	.amdgpu_metadata
---
amdhsa.kernels:
  - .agpr_count:     0
    .args:
      - .address_space:  global
        .offset:         0
        .size:           8
        .value_kind:     global_buffer
      - .address_space:  global
        .offset:         8
        .size:           8
        .value_kind:     global_buffer
    .group_segment_fixed_size: 8192
    .kernarg_segment_align: 8
    .kernarg_segment_size: 16
    .language:       OpenCL C
    .language_version:
      - 2
      - 0
    .max_flat_workgroup_size: 1024
    .name:           _Z16warp_load_kernelILj1024ELj4ELj1ELN7rocprim17ROCPRIM_304000_NS16warp_load_methodE3E12hip_bfloat16EvPT3_S5_
    .private_segment_fixed_size: 0
    .sgpr_count:     10
    .sgpr_spill_count: 0
    .symbol:         _Z16warp_load_kernelILj1024ELj4ELj1ELN7rocprim17ROCPRIM_304000_NS16warp_load_methodE3E12hip_bfloat16EvPT3_S5_.kd
    .uniform_work_group_size: 1
    .uses_dynamic_stack: false
    .vgpr_count:     3
    .vgpr_spill_count: 0
    .wavefront_size: 64
  - .agpr_count:     0
    .args:
      - .address_space:  global
        .offset:         0
        .size:           8
        .value_kind:     global_buffer
      - .address_space:  global
        .offset:         8
        .size:           8
        .value_kind:     global_buffer
    .group_segment_fixed_size: 0
    .kernarg_segment_align: 8
    .kernarg_segment_size: 16
    .language:       OpenCL C
    .language_version:
      - 2
      - 0
    .max_flat_workgroup_size: 1024
    .name:           _Z16warp_load_kernelILj1024ELj4ELj1ELN7rocprim17ROCPRIM_304000_NS16warp_load_methodE2E12hip_bfloat16EvPT3_S5_
    .private_segment_fixed_size: 0
    .sgpr_count:     10
    .sgpr_spill_count: 0
    .symbol:         _Z16warp_load_kernelILj1024ELj4ELj1ELN7rocprim17ROCPRIM_304000_NS16warp_load_methodE2E12hip_bfloat16EvPT3_S5_.kd
    .uniform_work_group_size: 1
    .uses_dynamic_stack: false
    .vgpr_count:     3
    .vgpr_spill_count: 0
    .wavefront_size: 64
  - .agpr_count:     0
    .args:
      - .address_space:  global
        .offset:         0
        .size:           8
        .value_kind:     global_buffer
      - .address_space:  global
        .offset:         8
        .size:           8
        .value_kind:     global_buffer
    .group_segment_fixed_size: 0
    .kernarg_segment_align: 8
    .kernarg_segment_size: 16
    .language:       OpenCL C
    .language_version:
      - 2
      - 0
    .max_flat_workgroup_size: 1024
    .name:           _Z16warp_load_kernelILj1024ELj4ELj1ELN7rocprim17ROCPRIM_304000_NS16warp_load_methodE1E12hip_bfloat16EvPT3_S5_
    .private_segment_fixed_size: 0
    .sgpr_count:     10
    .sgpr_spill_count: 0
    .symbol:         _Z16warp_load_kernelILj1024ELj4ELj1ELN7rocprim17ROCPRIM_304000_NS16warp_load_methodE1E12hip_bfloat16EvPT3_S5_.kd
    .uniform_work_group_size: 1
    .uses_dynamic_stack: false
    .vgpr_count:     3
    .vgpr_spill_count: 0
    .wavefront_size: 64
  - .agpr_count:     0
    .args:
      - .address_space:  global
        .offset:         0
        .size:           8
        .value_kind:     global_buffer
      - .address_space:  global
        .offset:         8
        .size:           8
        .value_kind:     global_buffer
    .group_segment_fixed_size: 0
    .kernarg_segment_align: 8
    .kernarg_segment_size: 16
    .language:       OpenCL C
    .language_version:
      - 2
      - 0
    .max_flat_workgroup_size: 1024
    .name:           _Z16warp_load_kernelILj1024ELj4ELj1ELN7rocprim17ROCPRIM_304000_NS16warp_load_methodE0E12hip_bfloat16EvPT3_S5_
    .private_segment_fixed_size: 0
    .sgpr_count:     10
    .sgpr_spill_count: 0
    .symbol:         _Z16warp_load_kernelILj1024ELj4ELj1ELN7rocprim17ROCPRIM_304000_NS16warp_load_methodE0E12hip_bfloat16EvPT3_S5_.kd
    .uniform_work_group_size: 1
    .uses_dynamic_stack: false
    .vgpr_count:     3
    .vgpr_spill_count: 0
    .wavefront_size: 64
  - .agpr_count:     0
    .args:
      - .address_space:  global
        .offset:         0
        .size:           8
        .value_kind:     global_buffer
      - .address_space:  global
        .offset:         8
        .size:           8
        .value_kind:     global_buffer
    .group_segment_fixed_size: 32768
    .kernarg_segment_align: 8
    .kernarg_segment_size: 16
    .language:       OpenCL C
    .language_version:
      - 2
      - 0
    .max_flat_workgroup_size: 1024
    .name:           _Z16warp_load_kernelILj1024ELj4ELj1ELN7rocprim17ROCPRIM_304000_NS16warp_load_methodE3EdEvPT3_S4_
    .private_segment_fixed_size: 0
    .sgpr_count:     10
    .sgpr_spill_count: 0
    .symbol:         _Z16warp_load_kernelILj1024ELj4ELj1ELN7rocprim17ROCPRIM_304000_NS16warp_load_methodE3EdEvPT3_S4_.kd
    .uniform_work_group_size: 1
    .uses_dynamic_stack: false
    .vgpr_count:     9
    .vgpr_spill_count: 0
    .wavefront_size: 64
  - .agpr_count:     0
    .args:
      - .address_space:  global
        .offset:         0
        .size:           8
        .value_kind:     global_buffer
      - .address_space:  global
        .offset:         8
        .size:           8
        .value_kind:     global_buffer
    .group_segment_fixed_size: 0
    .kernarg_segment_align: 8
    .kernarg_segment_size: 16
    .language:       OpenCL C
    .language_version:
      - 2
      - 0
    .max_flat_workgroup_size: 1024
    .name:           _Z16warp_load_kernelILj1024ELj4ELj1ELN7rocprim17ROCPRIM_304000_NS16warp_load_methodE2EdEvPT3_S4_
    .private_segment_fixed_size: 0
    .sgpr_count:     10
    .sgpr_spill_count: 0
    .symbol:         _Z16warp_load_kernelILj1024ELj4ELj1ELN7rocprim17ROCPRIM_304000_NS16warp_load_methodE2EdEvPT3_S4_.kd
    .uniform_work_group_size: 1
    .uses_dynamic_stack: false
    .vgpr_count:     9
    .vgpr_spill_count: 0
    .wavefront_size: 64
  - .agpr_count:     0
    .args:
      - .address_space:  global
        .offset:         0
        .size:           8
        .value_kind:     global_buffer
      - .address_space:  global
        .offset:         8
        .size:           8
        .value_kind:     global_buffer
    .group_segment_fixed_size: 0
    .kernarg_segment_align: 8
    .kernarg_segment_size: 16
    .language:       OpenCL C
    .language_version:
      - 2
      - 0
    .max_flat_workgroup_size: 1024
    .name:           _Z16warp_load_kernelILj1024ELj4ELj1ELN7rocprim17ROCPRIM_304000_NS16warp_load_methodE1EdEvPT3_S4_
    .private_segment_fixed_size: 0
    .sgpr_count:     10
    .sgpr_spill_count: 0
    .symbol:         _Z16warp_load_kernelILj1024ELj4ELj1ELN7rocprim17ROCPRIM_304000_NS16warp_load_methodE1EdEvPT3_S4_.kd
    .uniform_work_group_size: 1
    .uses_dynamic_stack: false
    .vgpr_count:     9
    .vgpr_spill_count: 0
    .wavefront_size: 64
  - .agpr_count:     0
    .args:
      - .address_space:  global
        .offset:         0
        .size:           8
        .value_kind:     global_buffer
      - .address_space:  global
        .offset:         8
        .size:           8
        .value_kind:     global_buffer
    .group_segment_fixed_size: 0
    .kernarg_segment_align: 8
    .kernarg_segment_size: 16
    .language:       OpenCL C
    .language_version:
      - 2
      - 0
    .max_flat_workgroup_size: 1024
    .name:           _Z16warp_load_kernelILj1024ELj4ELj1ELN7rocprim17ROCPRIM_304000_NS16warp_load_methodE0EdEvPT3_S4_
    .private_segment_fixed_size: 0
    .sgpr_count:     10
    .sgpr_spill_count: 0
    .symbol:         _Z16warp_load_kernelILj1024ELj4ELj1ELN7rocprim17ROCPRIM_304000_NS16warp_load_methodE0EdEvPT3_S4_.kd
    .uniform_work_group_size: 1
    .uses_dynamic_stack: false
    .vgpr_count:     9
    .vgpr_spill_count: 0
    .wavefront_size: 64
  - .agpr_count:     0
    .args:
      - .address_space:  global
        .offset:         0
        .size:           8
        .value_kind:     global_buffer
      - .address_space:  global
        .offset:         8
        .size:           8
        .value_kind:     global_buffer
    .group_segment_fixed_size: 16384
    .kernarg_segment_align: 8
    .kernarg_segment_size: 16
    .language:       OpenCL C
    .language_version:
      - 2
      - 0
    .max_flat_workgroup_size: 1024
    .name:           _Z16warp_load_kernelILj1024ELj4ELj1ELN7rocprim17ROCPRIM_304000_NS16warp_load_methodE3EfEvPT3_S4_
    .private_segment_fixed_size: 0
    .sgpr_count:     10
    .sgpr_spill_count: 0
    .symbol:         _Z16warp_load_kernelILj1024ELj4ELj1ELN7rocprim17ROCPRIM_304000_NS16warp_load_methodE3EfEvPT3_S4_.kd
    .uniform_work_group_size: 1
    .uses_dynamic_stack: false
    .vgpr_count:     5
    .vgpr_spill_count: 0
    .wavefront_size: 64
  - .agpr_count:     0
    .args:
      - .address_space:  global
        .offset:         0
        .size:           8
        .value_kind:     global_buffer
      - .address_space:  global
        .offset:         8
        .size:           8
        .value_kind:     global_buffer
    .group_segment_fixed_size: 0
    .kernarg_segment_align: 8
    .kernarg_segment_size: 16
    .language:       OpenCL C
    .language_version:
      - 2
      - 0
    .max_flat_workgroup_size: 1024
    .name:           _Z16warp_load_kernelILj1024ELj4ELj1ELN7rocprim17ROCPRIM_304000_NS16warp_load_methodE2EfEvPT3_S4_
    .private_segment_fixed_size: 0
    .sgpr_count:     10
    .sgpr_spill_count: 0
    .symbol:         _Z16warp_load_kernelILj1024ELj4ELj1ELN7rocprim17ROCPRIM_304000_NS16warp_load_methodE2EfEvPT3_S4_.kd
    .uniform_work_group_size: 1
    .uses_dynamic_stack: false
    .vgpr_count:     5
    .vgpr_spill_count: 0
    .wavefront_size: 64
  - .agpr_count:     0
    .args:
      - .address_space:  global
        .offset:         0
        .size:           8
        .value_kind:     global_buffer
      - .address_space:  global
        .offset:         8
        .size:           8
        .value_kind:     global_buffer
    .group_segment_fixed_size: 0
    .kernarg_segment_align: 8
    .kernarg_segment_size: 16
    .language:       OpenCL C
    .language_version:
      - 2
      - 0
    .max_flat_workgroup_size: 1024
    .name:           _Z16warp_load_kernelILj1024ELj4ELj1ELN7rocprim17ROCPRIM_304000_NS16warp_load_methodE1EfEvPT3_S4_
    .private_segment_fixed_size: 0
    .sgpr_count:     10
    .sgpr_spill_count: 0
    .symbol:         _Z16warp_load_kernelILj1024ELj4ELj1ELN7rocprim17ROCPRIM_304000_NS16warp_load_methodE1EfEvPT3_S4_.kd
    .uniform_work_group_size: 1
    .uses_dynamic_stack: false
    .vgpr_count:     5
    .vgpr_spill_count: 0
    .wavefront_size: 64
  - .agpr_count:     0
    .args:
      - .address_space:  global
        .offset:         0
        .size:           8
        .value_kind:     global_buffer
      - .address_space:  global
        .offset:         8
        .size:           8
        .value_kind:     global_buffer
    .group_segment_fixed_size: 0
    .kernarg_segment_align: 8
    .kernarg_segment_size: 16
    .language:       OpenCL C
    .language_version:
      - 2
      - 0
    .max_flat_workgroup_size: 1024
    .name:           _Z16warp_load_kernelILj1024ELj4ELj1ELN7rocprim17ROCPRIM_304000_NS16warp_load_methodE0EfEvPT3_S4_
    .private_segment_fixed_size: 0
    .sgpr_count:     10
    .sgpr_spill_count: 0
    .symbol:         _Z16warp_load_kernelILj1024ELj4ELj1ELN7rocprim17ROCPRIM_304000_NS16warp_load_methodE0EfEvPT3_S4_.kd
    .uniform_work_group_size: 1
    .uses_dynamic_stack: false
    .vgpr_count:     5
    .vgpr_spill_count: 0
    .wavefront_size: 64
  - .agpr_count:     0
    .args:
      - .address_space:  global
        .offset:         0
        .size:           8
        .value_kind:     global_buffer
      - .address_space:  global
        .offset:         8
        .size:           8
        .value_kind:     global_buffer
    .group_segment_fixed_size: 4096
    .kernarg_segment_align: 8
    .kernarg_segment_size: 16
    .language:       OpenCL C
    .language_version:
      - 2
      - 0
    .max_flat_workgroup_size: 1024
    .name:           _Z16warp_load_kernelILj1024ELj4ELj1ELN7rocprim17ROCPRIM_304000_NS16warp_load_methodE3EhEvPT3_S4_
    .private_segment_fixed_size: 0
    .sgpr_count:     10
    .sgpr_spill_count: 0
    .symbol:         _Z16warp_load_kernelILj1024ELj4ELj1ELN7rocprim17ROCPRIM_304000_NS16warp_load_methodE3EhEvPT3_S4_.kd
    .uniform_work_group_size: 1
    .uses_dynamic_stack: false
    .vgpr_count:     2
    .vgpr_spill_count: 0
    .wavefront_size: 64
  - .agpr_count:     0
    .args:
      - .address_space:  global
        .offset:         0
        .size:           8
        .value_kind:     global_buffer
      - .address_space:  global
        .offset:         8
        .size:           8
        .value_kind:     global_buffer
    .group_segment_fixed_size: 0
    .kernarg_segment_align: 8
    .kernarg_segment_size: 16
    .language:       OpenCL C
    .language_version:
      - 2
      - 0
    .max_flat_workgroup_size: 1024
    .name:           _Z16warp_load_kernelILj1024ELj4ELj1ELN7rocprim17ROCPRIM_304000_NS16warp_load_methodE2EhEvPT3_S4_
    .private_segment_fixed_size: 0
    .sgpr_count:     10
    .sgpr_spill_count: 0
    .symbol:         _Z16warp_load_kernelILj1024ELj4ELj1ELN7rocprim17ROCPRIM_304000_NS16warp_load_methodE2EhEvPT3_S4_.kd
    .uniform_work_group_size: 1
    .uses_dynamic_stack: false
    .vgpr_count:     2
    .vgpr_spill_count: 0
    .wavefront_size: 64
  - .agpr_count:     0
    .args:
      - .address_space:  global
        .offset:         0
        .size:           8
        .value_kind:     global_buffer
      - .address_space:  global
        .offset:         8
        .size:           8
        .value_kind:     global_buffer
    .group_segment_fixed_size: 0
    .kernarg_segment_align: 8
    .kernarg_segment_size: 16
    .language:       OpenCL C
    .language_version:
      - 2
      - 0
    .max_flat_workgroup_size: 1024
    .name:           _Z16warp_load_kernelILj1024ELj4ELj1ELN7rocprim17ROCPRIM_304000_NS16warp_load_methodE1EhEvPT3_S4_
    .private_segment_fixed_size: 0
    .sgpr_count:     10
    .sgpr_spill_count: 0
    .symbol:         _Z16warp_load_kernelILj1024ELj4ELj1ELN7rocprim17ROCPRIM_304000_NS16warp_load_methodE1EhEvPT3_S4_.kd
    .uniform_work_group_size: 1
    .uses_dynamic_stack: false
    .vgpr_count:     2
    .vgpr_spill_count: 0
    .wavefront_size: 64
  - .agpr_count:     0
    .args:
      - .address_space:  global
        .offset:         0
        .size:           8
        .value_kind:     global_buffer
      - .address_space:  global
        .offset:         8
        .size:           8
        .value_kind:     global_buffer
    .group_segment_fixed_size: 0
    .kernarg_segment_align: 8
    .kernarg_segment_size: 16
    .language:       OpenCL C
    .language_version:
      - 2
      - 0
    .max_flat_workgroup_size: 1024
    .name:           _Z16warp_load_kernelILj1024ELj4ELj1ELN7rocprim17ROCPRIM_304000_NS16warp_load_methodE0EhEvPT3_S4_
    .private_segment_fixed_size: 0
    .sgpr_count:     10
    .sgpr_spill_count: 0
    .symbol:         _Z16warp_load_kernelILj1024ELj4ELj1ELN7rocprim17ROCPRIM_304000_NS16warp_load_methodE0EhEvPT3_S4_.kd
    .uniform_work_group_size: 1
    .uses_dynamic_stack: false
    .vgpr_count:     2
    .vgpr_spill_count: 0
    .wavefront_size: 64
  - .agpr_count:     0
    .args:
      - .address_space:  global
        .offset:         0
        .size:           8
        .value_kind:     global_buffer
      - .address_space:  global
        .offset:         8
        .size:           8
        .value_kind:     global_buffer
    .group_segment_fixed_size: 4096
    .kernarg_segment_align: 8
    .kernarg_segment_size: 16
    .language:       OpenCL C
    .language_version:
      - 2
      - 0
    .max_flat_workgroup_size: 1024
    .name:           _Z16warp_load_kernelILj1024ELj4ELj1ELN7rocprim17ROCPRIM_304000_NS16warp_load_methodE3EaEvPT3_S4_
    .private_segment_fixed_size: 0
    .sgpr_count:     10
    .sgpr_spill_count: 0
    .symbol:         _Z16warp_load_kernelILj1024ELj4ELj1ELN7rocprim17ROCPRIM_304000_NS16warp_load_methodE3EaEvPT3_S4_.kd
    .uniform_work_group_size: 1
    .uses_dynamic_stack: false
    .vgpr_count:     2
    .vgpr_spill_count: 0
    .wavefront_size: 64
  - .agpr_count:     0
    .args:
      - .address_space:  global
        .offset:         0
        .size:           8
        .value_kind:     global_buffer
      - .address_space:  global
        .offset:         8
        .size:           8
        .value_kind:     global_buffer
    .group_segment_fixed_size: 0
    .kernarg_segment_align: 8
    .kernarg_segment_size: 16
    .language:       OpenCL C
    .language_version:
      - 2
      - 0
    .max_flat_workgroup_size: 1024
    .name:           _Z16warp_load_kernelILj1024ELj4ELj1ELN7rocprim17ROCPRIM_304000_NS16warp_load_methodE2EaEvPT3_S4_
    .private_segment_fixed_size: 0
    .sgpr_count:     10
    .sgpr_spill_count: 0
    .symbol:         _Z16warp_load_kernelILj1024ELj4ELj1ELN7rocprim17ROCPRIM_304000_NS16warp_load_methodE2EaEvPT3_S4_.kd
    .uniform_work_group_size: 1
    .uses_dynamic_stack: false
    .vgpr_count:     2
    .vgpr_spill_count: 0
    .wavefront_size: 64
  - .agpr_count:     0
    .args:
      - .address_space:  global
        .offset:         0
        .size:           8
        .value_kind:     global_buffer
      - .address_space:  global
        .offset:         8
        .size:           8
        .value_kind:     global_buffer
    .group_segment_fixed_size: 0
    .kernarg_segment_align: 8
    .kernarg_segment_size: 16
    .language:       OpenCL C
    .language_version:
      - 2
      - 0
    .max_flat_workgroup_size: 1024
    .name:           _Z16warp_load_kernelILj1024ELj4ELj1ELN7rocprim17ROCPRIM_304000_NS16warp_load_methodE1EaEvPT3_S4_
    .private_segment_fixed_size: 0
    .sgpr_count:     10
    .sgpr_spill_count: 0
    .symbol:         _Z16warp_load_kernelILj1024ELj4ELj1ELN7rocprim17ROCPRIM_304000_NS16warp_load_methodE1EaEvPT3_S4_.kd
    .uniform_work_group_size: 1
    .uses_dynamic_stack: false
    .vgpr_count:     2
    .vgpr_spill_count: 0
    .wavefront_size: 64
  - .agpr_count:     0
    .args:
      - .address_space:  global
        .offset:         0
        .size:           8
        .value_kind:     global_buffer
      - .address_space:  global
        .offset:         8
        .size:           8
        .value_kind:     global_buffer
    .group_segment_fixed_size: 0
    .kernarg_segment_align: 8
    .kernarg_segment_size: 16
    .language:       OpenCL C
    .language_version:
      - 2
      - 0
    .max_flat_workgroup_size: 1024
    .name:           _Z16warp_load_kernelILj1024ELj4ELj1ELN7rocprim17ROCPRIM_304000_NS16warp_load_methodE0EaEvPT3_S4_
    .private_segment_fixed_size: 0
    .sgpr_count:     10
    .sgpr_spill_count: 0
    .symbol:         _Z16warp_load_kernelILj1024ELj4ELj1ELN7rocprim17ROCPRIM_304000_NS16warp_load_methodE0EaEvPT3_S4_.kd
    .uniform_work_group_size: 1
    .uses_dynamic_stack: false
    .vgpr_count:     2
    .vgpr_spill_count: 0
    .wavefront_size: 64
  - .agpr_count:     0
    .args:
      - .address_space:  global
        .offset:         0
        .size:           8
        .value_kind:     global_buffer
      - .address_space:  global
        .offset:         8
        .size:           8
        .value_kind:     global_buffer
    .group_segment_fixed_size: 32768
    .kernarg_segment_align: 8
    .kernarg_segment_size: 16
    .language:       OpenCL C
    .language_version:
      - 2
      - 0
    .max_flat_workgroup_size: 1024
    .name:           _Z16warp_load_kernelILj1024ELj4ELj32ELN7rocprim17ROCPRIM_304000_NS16warp_load_methodE3E15HIP_vector_typeIfLj2EEEvPT3_S6_
    .private_segment_fixed_size: 0
    .sgpr_count:     10
    .sgpr_spill_count: 0
    .symbol:         _Z16warp_load_kernelILj1024ELj4ELj32ELN7rocprim17ROCPRIM_304000_NS16warp_load_methodE3E15HIP_vector_typeIfLj2EEEvPT3_S6_.kd
    .uniform_work_group_size: 1
    .uses_dynamic_stack: false
    .vgpr_count:     14
    .vgpr_spill_count: 0
    .wavefront_size: 64
  - .agpr_count:     0
    .args:
      - .address_space:  global
        .offset:         0
        .size:           8
        .value_kind:     global_buffer
      - .address_space:  global
        .offset:         8
        .size:           8
        .value_kind:     global_buffer
    .group_segment_fixed_size: 0
    .kernarg_segment_align: 8
    .kernarg_segment_size: 16
    .language:       OpenCL C
    .language_version:
      - 2
      - 0
    .max_flat_workgroup_size: 1024
    .name:           _Z16warp_load_kernelILj1024ELj4ELj32ELN7rocprim17ROCPRIM_304000_NS16warp_load_methodE2E15HIP_vector_typeIfLj2EEEvPT3_S6_
    .private_segment_fixed_size: 0
    .sgpr_count:     10
    .sgpr_spill_count: 0
    .symbol:         _Z16warp_load_kernelILj1024ELj4ELj32ELN7rocprim17ROCPRIM_304000_NS16warp_load_methodE2E15HIP_vector_typeIfLj2EEEvPT3_S6_.kd
    .uniform_work_group_size: 1
    .uses_dynamic_stack: false
    .vgpr_count:     11
    .vgpr_spill_count: 0
    .wavefront_size: 64
  - .agpr_count:     0
    .args:
      - .address_space:  global
        .offset:         0
        .size:           8
        .value_kind:     global_buffer
      - .address_space:  global
        .offset:         8
        .size:           8
        .value_kind:     global_buffer
    .group_segment_fixed_size: 0
    .kernarg_segment_align: 8
    .kernarg_segment_size: 16
    .language:       OpenCL C
    .language_version:
      - 2
      - 0
    .max_flat_workgroup_size: 1024
    .name:           _Z16warp_load_kernelILj1024ELj4ELj32ELN7rocprim17ROCPRIM_304000_NS16warp_load_methodE1E15HIP_vector_typeIfLj2EEEvPT3_S6_
    .private_segment_fixed_size: 0
    .sgpr_count:     10
    .sgpr_spill_count: 0
    .symbol:         _Z16warp_load_kernelILj1024ELj4ELj32ELN7rocprim17ROCPRIM_304000_NS16warp_load_methodE1E15HIP_vector_typeIfLj2EEEvPT3_S6_.kd
    .uniform_work_group_size: 1
    .uses_dynamic_stack: false
    .vgpr_count:     11
    .vgpr_spill_count: 0
    .wavefront_size: 64
  - .agpr_count:     0
    .args:
      - .address_space:  global
        .offset:         0
        .size:           8
        .value_kind:     global_buffer
      - .address_space:  global
        .offset:         8
        .size:           8
        .value_kind:     global_buffer
    .group_segment_fixed_size: 0
    .kernarg_segment_align: 8
    .kernarg_segment_size: 16
    .language:       OpenCL C
    .language_version:
      - 2
      - 0
    .max_flat_workgroup_size: 1024
    .name:           _Z16warp_load_kernelILj1024ELj4ELj32ELN7rocprim17ROCPRIM_304000_NS16warp_load_methodE0E15HIP_vector_typeIfLj2EEEvPT3_S6_
    .private_segment_fixed_size: 0
    .sgpr_count:     10
    .sgpr_spill_count: 0
    .symbol:         _Z16warp_load_kernelILj1024ELj4ELj32ELN7rocprim17ROCPRIM_304000_NS16warp_load_methodE0E15HIP_vector_typeIfLj2EEEvPT3_S6_.kd
    .uniform_work_group_size: 1
    .uses_dynamic_stack: false
    .vgpr_count:     11
    .vgpr_spill_count: 0
    .wavefront_size: 64
  - .agpr_count:     0
    .args:
      - .address_space:  global
        .offset:         0
        .size:           8
        .value_kind:     global_buffer
      - .address_space:  global
        .offset:         8
        .size:           8
        .value_kind:     global_buffer
    .group_segment_fixed_size: 16384
    .kernarg_segment_align: 8
    .kernarg_segment_size: 16
    .language:       OpenCL C
    .language_version:
      - 2
      - 0
    .max_flat_workgroup_size: 1024
    .name:           _Z16warp_load_kernelILj1024ELj4ELj64ELN7rocprim17ROCPRIM_304000_NS16warp_load_methodE3EiEvPT3_S4_
    .private_segment_fixed_size: 0
    .sgpr_count:     10
    .sgpr_spill_count: 0
    .symbol:         _Z16warp_load_kernelILj1024ELj4ELj64ELN7rocprim17ROCPRIM_304000_NS16warp_load_methodE3EiEvPT3_S4_.kd
    .uniform_work_group_size: 1
    .uses_dynamic_stack: false
    .vgpr_count:     10
    .vgpr_spill_count: 0
    .wavefront_size: 64
  - .agpr_count:     0
    .args:
      - .address_space:  global
        .offset:         0
        .size:           8
        .value_kind:     global_buffer
      - .address_space:  global
        .offset:         8
        .size:           8
        .value_kind:     global_buffer
    .group_segment_fixed_size: 0
    .kernarg_segment_align: 8
    .kernarg_segment_size: 16
    .language:       OpenCL C
    .language_version:
      - 2
      - 0
    .max_flat_workgroup_size: 1024
    .name:           _Z16warp_load_kernelILj1024ELj4ELj64ELN7rocprim17ROCPRIM_304000_NS16warp_load_methodE2EiEvPT3_S4_
    .private_segment_fixed_size: 0
    .sgpr_count:     10
    .sgpr_spill_count: 0
    .symbol:         _Z16warp_load_kernelILj1024ELj4ELj64ELN7rocprim17ROCPRIM_304000_NS16warp_load_methodE2EiEvPT3_S4_.kd
    .uniform_work_group_size: 1
    .uses_dynamic_stack: false
    .vgpr_count:     5
    .vgpr_spill_count: 0
    .wavefront_size: 64
  - .agpr_count:     0
    .args:
      - .address_space:  global
        .offset:         0
        .size:           8
        .value_kind:     global_buffer
      - .address_space:  global
        .offset:         8
        .size:           8
        .value_kind:     global_buffer
    .group_segment_fixed_size: 0
    .kernarg_segment_align: 8
    .kernarg_segment_size: 16
    .language:       OpenCL C
    .language_version:
      - 2
      - 0
    .max_flat_workgroup_size: 1024
    .name:           _Z16warp_load_kernelILj1024ELj4ELj64ELN7rocprim17ROCPRIM_304000_NS16warp_load_methodE1EiEvPT3_S4_
    .private_segment_fixed_size: 0
    .sgpr_count:     10
    .sgpr_spill_count: 0
    .symbol:         _Z16warp_load_kernelILj1024ELj4ELj64ELN7rocprim17ROCPRIM_304000_NS16warp_load_methodE1EiEvPT3_S4_.kd
    .uniform_work_group_size: 1
    .uses_dynamic_stack: false
    .vgpr_count:     7
    .vgpr_spill_count: 0
    .wavefront_size: 64
  - .agpr_count:     0
    .args:
      - .address_space:  global
        .offset:         0
        .size:           8
        .value_kind:     global_buffer
      - .address_space:  global
        .offset:         8
        .size:           8
        .value_kind:     global_buffer
    .group_segment_fixed_size: 0
    .kernarg_segment_align: 8
    .kernarg_segment_size: 16
    .language:       OpenCL C
    .language_version:
      - 2
      - 0
    .max_flat_workgroup_size: 1024
    .name:           _Z16warp_load_kernelILj1024ELj4ELj64ELN7rocprim17ROCPRIM_304000_NS16warp_load_methodE0EiEvPT3_S4_
    .private_segment_fixed_size: 0
    .sgpr_count:     10
    .sgpr_spill_count: 0
    .symbol:         _Z16warp_load_kernelILj1024ELj4ELj64ELN7rocprim17ROCPRIM_304000_NS16warp_load_methodE0EiEvPT3_S4_.kd
    .uniform_work_group_size: 1
    .uses_dynamic_stack: false
    .vgpr_count:     5
    .vgpr_spill_count: 0
    .wavefront_size: 64
  - .agpr_count:     0
    .args:
      - .address_space:  global
        .offset:         0
        .size:           8
        .value_kind:     global_buffer
      - .address_space:  global
        .offset:         8
        .size:           8
        .value_kind:     global_buffer
    .group_segment_fixed_size: 16384
    .kernarg_segment_align: 8
    .kernarg_segment_size: 16
    .language:       OpenCL C
    .language_version:
      - 2
      - 0
    .max_flat_workgroup_size: 1024
    .name:           _Z16warp_load_kernelILj1024ELj4ELj32ELN7rocprim17ROCPRIM_304000_NS16warp_load_methodE3EiEvPT3_S4_
    .private_segment_fixed_size: 0
    .sgpr_count:     10
    .sgpr_spill_count: 0
    .symbol:         _Z16warp_load_kernelILj1024ELj4ELj32ELN7rocprim17ROCPRIM_304000_NS16warp_load_methodE3EiEvPT3_S4_.kd
    .uniform_work_group_size: 1
    .uses_dynamic_stack: false
    .vgpr_count:     10
    .vgpr_spill_count: 0
    .wavefront_size: 64
  - .agpr_count:     0
    .args:
      - .address_space:  global
        .offset:         0
        .size:           8
        .value_kind:     global_buffer
      - .address_space:  global
        .offset:         8
        .size:           8
        .value_kind:     global_buffer
    .group_segment_fixed_size: 0
    .kernarg_segment_align: 8
    .kernarg_segment_size: 16
    .language:       OpenCL C
    .language_version:
      - 2
      - 0
    .max_flat_workgroup_size: 1024
    .name:           _Z16warp_load_kernelILj1024ELj4ELj32ELN7rocprim17ROCPRIM_304000_NS16warp_load_methodE2EiEvPT3_S4_
    .private_segment_fixed_size: 0
    .sgpr_count:     10
    .sgpr_spill_count: 0
    .symbol:         _Z16warp_load_kernelILj1024ELj4ELj32ELN7rocprim17ROCPRIM_304000_NS16warp_load_methodE2EiEvPT3_S4_.kd
    .uniform_work_group_size: 1
    .uses_dynamic_stack: false
    .vgpr_count:     5
    .vgpr_spill_count: 0
    .wavefront_size: 64
  - .agpr_count:     0
    .args:
      - .address_space:  global
        .offset:         0
        .size:           8
        .value_kind:     global_buffer
      - .address_space:  global
        .offset:         8
        .size:           8
        .value_kind:     global_buffer
    .group_segment_fixed_size: 0
    .kernarg_segment_align: 8
    .kernarg_segment_size: 16
    .language:       OpenCL C
    .language_version:
      - 2
      - 0
    .max_flat_workgroup_size: 1024
    .name:           _Z16warp_load_kernelILj1024ELj4ELj32ELN7rocprim17ROCPRIM_304000_NS16warp_load_methodE1EiEvPT3_S4_
    .private_segment_fixed_size: 0
    .sgpr_count:     10
    .sgpr_spill_count: 0
    .symbol:         _Z16warp_load_kernelILj1024ELj4ELj32ELN7rocprim17ROCPRIM_304000_NS16warp_load_methodE1EiEvPT3_S4_.kd
    .uniform_work_group_size: 1
    .uses_dynamic_stack: false
    .vgpr_count:     7
    .vgpr_spill_count: 0
    .wavefront_size: 64
  - .agpr_count:     0
    .args:
      - .address_space:  global
        .offset:         0
        .size:           8
        .value_kind:     global_buffer
      - .address_space:  global
        .offset:         8
        .size:           8
        .value_kind:     global_buffer
    .group_segment_fixed_size: 0
    .kernarg_segment_align: 8
    .kernarg_segment_size: 16
    .language:       OpenCL C
    .language_version:
      - 2
      - 0
    .max_flat_workgroup_size: 1024
    .name:           _Z16warp_load_kernelILj1024ELj4ELj32ELN7rocprim17ROCPRIM_304000_NS16warp_load_methodE0EiEvPT3_S4_
    .private_segment_fixed_size: 0
    .sgpr_count:     10
    .sgpr_spill_count: 0
    .symbol:         _Z16warp_load_kernelILj1024ELj4ELj32ELN7rocprim17ROCPRIM_304000_NS16warp_load_methodE0EiEvPT3_S4_.kd
    .uniform_work_group_size: 1
    .uses_dynamic_stack: false
    .vgpr_count:     5
    .vgpr_spill_count: 0
    .wavefront_size: 64
  - .agpr_count:     0
    .args:
      - .address_space:  global
        .offset:         0
        .size:           8
        .value_kind:     global_buffer
      - .address_space:  global
        .offset:         8
        .size:           8
        .value_kind:     global_buffer
    .group_segment_fixed_size: 16384
    .kernarg_segment_align: 8
    .kernarg_segment_size: 16
    .language:       OpenCL C
    .language_version:
      - 2
      - 0
    .max_flat_workgroup_size: 1024
    .name:           _Z16warp_load_kernelILj1024ELj4ELj8ELN7rocprim17ROCPRIM_304000_NS16warp_load_methodE3EiEvPT3_S4_
    .private_segment_fixed_size: 0
    .sgpr_count:     10
    .sgpr_spill_count: 0
    .symbol:         _Z16warp_load_kernelILj1024ELj4ELj8ELN7rocprim17ROCPRIM_304000_NS16warp_load_methodE3EiEvPT3_S4_.kd
    .uniform_work_group_size: 1
    .uses_dynamic_stack: false
    .vgpr_count:     10
    .vgpr_spill_count: 0
    .wavefront_size: 64
  - .agpr_count:     0
    .args:
      - .address_space:  global
        .offset:         0
        .size:           8
        .value_kind:     global_buffer
      - .address_space:  global
        .offset:         8
        .size:           8
        .value_kind:     global_buffer
    .group_segment_fixed_size: 0
    .kernarg_segment_align: 8
    .kernarg_segment_size: 16
    .language:       OpenCL C
    .language_version:
      - 2
      - 0
    .max_flat_workgroup_size: 1024
    .name:           _Z16warp_load_kernelILj1024ELj4ELj8ELN7rocprim17ROCPRIM_304000_NS16warp_load_methodE2EiEvPT3_S4_
    .private_segment_fixed_size: 0
    .sgpr_count:     10
    .sgpr_spill_count: 0
    .symbol:         _Z16warp_load_kernelILj1024ELj4ELj8ELN7rocprim17ROCPRIM_304000_NS16warp_load_methodE2EiEvPT3_S4_.kd
    .uniform_work_group_size: 1
    .uses_dynamic_stack: false
    .vgpr_count:     5
    .vgpr_spill_count: 0
    .wavefront_size: 64
  - .agpr_count:     0
    .args:
      - .address_space:  global
        .offset:         0
        .size:           8
        .value_kind:     global_buffer
      - .address_space:  global
        .offset:         8
        .size:           8
        .value_kind:     global_buffer
    .group_segment_fixed_size: 0
    .kernarg_segment_align: 8
    .kernarg_segment_size: 16
    .language:       OpenCL C
    .language_version:
      - 2
      - 0
    .max_flat_workgroup_size: 1024
    .name:           _Z16warp_load_kernelILj1024ELj4ELj8ELN7rocprim17ROCPRIM_304000_NS16warp_load_methodE1EiEvPT3_S4_
    .private_segment_fixed_size: 0
    .sgpr_count:     10
    .sgpr_spill_count: 0
    .symbol:         _Z16warp_load_kernelILj1024ELj4ELj8ELN7rocprim17ROCPRIM_304000_NS16warp_load_methodE1EiEvPT3_S4_.kd
    .uniform_work_group_size: 1
    .uses_dynamic_stack: false
    .vgpr_count:     7
    .vgpr_spill_count: 0
    .wavefront_size: 64
  - .agpr_count:     0
    .args:
      - .address_space:  global
        .offset:         0
        .size:           8
        .value_kind:     global_buffer
      - .address_space:  global
        .offset:         8
        .size:           8
        .value_kind:     global_buffer
    .group_segment_fixed_size: 0
    .kernarg_segment_align: 8
    .kernarg_segment_size: 16
    .language:       OpenCL C
    .language_version:
      - 2
      - 0
    .max_flat_workgroup_size: 1024
    .name:           _Z16warp_load_kernelILj1024ELj4ELj8ELN7rocprim17ROCPRIM_304000_NS16warp_load_methodE0EiEvPT3_S4_
    .private_segment_fixed_size: 0
    .sgpr_count:     10
    .sgpr_spill_count: 0
    .symbol:         _Z16warp_load_kernelILj1024ELj4ELj8ELN7rocprim17ROCPRIM_304000_NS16warp_load_methodE0EiEvPT3_S4_.kd
    .uniform_work_group_size: 1
    .uses_dynamic_stack: false
    .vgpr_count:     5
    .vgpr_spill_count: 0
    .wavefront_size: 64
  - .agpr_count:     0
    .args:
      - .address_space:  global
        .offset:         0
        .size:           8
        .value_kind:     global_buffer
      - .address_space:  global
        .offset:         8
        .size:           8
        .value_kind:     global_buffer
      - .offset:         16
        .size:           4
        .value_kind:     by_value
      - .offset:         20
        .size:           2
        .value_kind:     by_value
    .group_segment_fixed_size: 8192
    .kernarg_segment_align: 8
    .kernarg_segment_size: 24
    .language:       OpenCL C
    .language_version:
      - 2
      - 0
    .max_flat_workgroup_size: 1024
    .name:           _Z24warp_load_guarded_kernelILj1024ELj4ELj1ELN7rocprim17ROCPRIM_304000_NS16warp_load_methodE3E12hip_bfloat16EvPT3_S5_iS4_
    .private_segment_fixed_size: 0
    .sgpr_count:     12
    .sgpr_spill_count: 0
    .symbol:         _Z24warp_load_guarded_kernelILj1024ELj4ELj1ELN7rocprim17ROCPRIM_304000_NS16warp_load_methodE3E12hip_bfloat16EvPT3_S5_iS4_.kd
    .uniform_work_group_size: 1
    .uses_dynamic_stack: false
    .vgpr_count:     8
    .vgpr_spill_count: 0
    .wavefront_size: 64
  - .agpr_count:     0
    .args:
      - .address_space:  global
        .offset:         0
        .size:           8
        .value_kind:     global_buffer
      - .address_space:  global
        .offset:         8
        .size:           8
        .value_kind:     global_buffer
      - .offset:         16
        .size:           4
        .value_kind:     by_value
      - .offset:         20
        .size:           2
        .value_kind:     by_value
    .group_segment_fixed_size: 0
    .kernarg_segment_align: 8
    .kernarg_segment_size: 24
    .language:       OpenCL C
    .language_version:
      - 2
      - 0
    .max_flat_workgroup_size: 1024
    .name:           _Z24warp_load_guarded_kernelILj1024ELj4ELj1ELN7rocprim17ROCPRIM_304000_NS16warp_load_methodE2E12hip_bfloat16EvPT3_S5_iS4_
    .private_segment_fixed_size: 0
    .sgpr_count:     12
    .sgpr_spill_count: 0
    .symbol:         _Z24warp_load_guarded_kernelILj1024ELj4ELj1ELN7rocprim17ROCPRIM_304000_NS16warp_load_methodE2E12hip_bfloat16EvPT3_S5_iS4_.kd
    .uniform_work_group_size: 1
    .uses_dynamic_stack: false
    .vgpr_count:     7
    .vgpr_spill_count: 0
    .wavefront_size: 64
  - .agpr_count:     0
    .args:
      - .address_space:  global
        .offset:         0
        .size:           8
        .value_kind:     global_buffer
      - .address_space:  global
        .offset:         8
        .size:           8
        .value_kind:     global_buffer
      - .offset:         16
        .size:           4
        .value_kind:     by_value
      - .offset:         20
        .size:           2
        .value_kind:     by_value
    .group_segment_fixed_size: 0
    .kernarg_segment_align: 8
    .kernarg_segment_size: 24
    .language:       OpenCL C
    .language_version:
      - 2
      - 0
    .max_flat_workgroup_size: 1024
    .name:           _Z24warp_load_guarded_kernelILj1024ELj4ELj1ELN7rocprim17ROCPRIM_304000_NS16warp_load_methodE1E12hip_bfloat16EvPT3_S5_iS4_
    .private_segment_fixed_size: 0
    .sgpr_count:     12
    .sgpr_spill_count: 0
    .symbol:         _Z24warp_load_guarded_kernelILj1024ELj4ELj1ELN7rocprim17ROCPRIM_304000_NS16warp_load_methodE1E12hip_bfloat16EvPT3_S5_iS4_.kd
    .uniform_work_group_size: 1
    .uses_dynamic_stack: false
    .vgpr_count:     7
    .vgpr_spill_count: 0
    .wavefront_size: 64
  - .agpr_count:     0
    .args:
      - .address_space:  global
        .offset:         0
        .size:           8
        .value_kind:     global_buffer
      - .address_space:  global
        .offset:         8
        .size:           8
        .value_kind:     global_buffer
      - .offset:         16
        .size:           4
        .value_kind:     by_value
      - .offset:         20
        .size:           2
        .value_kind:     by_value
    .group_segment_fixed_size: 0
    .kernarg_segment_align: 8
    .kernarg_segment_size: 24
    .language:       OpenCL C
    .language_version:
      - 2
      - 0
    .max_flat_workgroup_size: 1024
    .name:           _Z24warp_load_guarded_kernelILj1024ELj4ELj1ELN7rocprim17ROCPRIM_304000_NS16warp_load_methodE0E12hip_bfloat16EvPT3_S5_iS4_
    .private_segment_fixed_size: 0
    .sgpr_count:     12
    .sgpr_spill_count: 0
    .symbol:         _Z24warp_load_guarded_kernelILj1024ELj4ELj1ELN7rocprim17ROCPRIM_304000_NS16warp_load_methodE0E12hip_bfloat16EvPT3_S5_iS4_.kd
    .uniform_work_group_size: 1
    .uses_dynamic_stack: false
    .vgpr_count:     7
    .vgpr_spill_count: 0
    .wavefront_size: 64
  - .agpr_count:     0
    .args:
      - .address_space:  global
        .offset:         0
        .size:           8
        .value_kind:     global_buffer
      - .address_space:  global
        .offset:         8
        .size:           8
        .value_kind:     global_buffer
      - .offset:         16
        .size:           4
        .value_kind:     by_value
      - .offset:         24
        .size:           8
        .value_kind:     by_value
    .group_segment_fixed_size: 32768
    .kernarg_segment_align: 8
    .kernarg_segment_size: 32
    .language:       OpenCL C
    .language_version:
      - 2
      - 0
    .max_flat_workgroup_size: 1024
    .name:           _Z24warp_load_guarded_kernelILj1024ELj4ELj1ELN7rocprim17ROCPRIM_304000_NS16warp_load_methodE3EdEvPT3_S4_iS3_
    .private_segment_fixed_size: 0
    .sgpr_count:     17
    .sgpr_spill_count: 0
    .symbol:         _Z24warp_load_guarded_kernelILj1024ELj4ELj1ELN7rocprim17ROCPRIM_304000_NS16warp_load_methodE3EdEvPT3_S4_iS3_.kd
    .uniform_work_group_size: 1
    .uses_dynamic_stack: false
    .vgpr_count:     14
    .vgpr_spill_count: 0
    .wavefront_size: 64
  - .agpr_count:     0
    .args:
      - .address_space:  global
        .offset:         0
        .size:           8
        .value_kind:     global_buffer
      - .address_space:  global
        .offset:         8
        .size:           8
        .value_kind:     global_buffer
      - .offset:         16
        .size:           4
        .value_kind:     by_value
      - .offset:         24
        .size:           8
        .value_kind:     by_value
    .group_segment_fixed_size: 0
    .kernarg_segment_align: 8
    .kernarg_segment_size: 32
    .language:       OpenCL C
    .language_version:
      - 2
      - 0
    .max_flat_workgroup_size: 1024
    .name:           _Z24warp_load_guarded_kernelILj1024ELj4ELj1ELN7rocprim17ROCPRIM_304000_NS16warp_load_methodE2EdEvPT3_S4_iS3_
    .private_segment_fixed_size: 0
    .sgpr_count:     17
    .sgpr_spill_count: 0
    .symbol:         _Z24warp_load_guarded_kernelILj1024ELj4ELj1ELN7rocprim17ROCPRIM_304000_NS16warp_load_methodE2EdEvPT3_S4_iS3_.kd
    .uniform_work_group_size: 1
    .uses_dynamic_stack: false
    .vgpr_count:     14
    .vgpr_spill_count: 0
    .wavefront_size: 64
  - .agpr_count:     0
    .args:
      - .address_space:  global
        .offset:         0
        .size:           8
        .value_kind:     global_buffer
      - .address_space:  global
        .offset:         8
        .size:           8
        .value_kind:     global_buffer
      - .offset:         16
        .size:           4
        .value_kind:     by_value
      - .offset:         24
        .size:           8
        .value_kind:     by_value
    .group_segment_fixed_size: 0
    .kernarg_segment_align: 8
    .kernarg_segment_size: 32
    .language:       OpenCL C
    .language_version:
      - 2
      - 0
    .max_flat_workgroup_size: 1024
    .name:           _Z24warp_load_guarded_kernelILj1024ELj4ELj1ELN7rocprim17ROCPRIM_304000_NS16warp_load_methodE1EdEvPT3_S4_iS3_
    .private_segment_fixed_size: 0
    .sgpr_count:     17
    .sgpr_spill_count: 0
    .symbol:         _Z24warp_load_guarded_kernelILj1024ELj4ELj1ELN7rocprim17ROCPRIM_304000_NS16warp_load_methodE1EdEvPT3_S4_iS3_.kd
    .uniform_work_group_size: 1
    .uses_dynamic_stack: false
    .vgpr_count:     14
    .vgpr_spill_count: 0
    .wavefront_size: 64
  - .agpr_count:     0
    .args:
      - .address_space:  global
        .offset:         0
        .size:           8
        .value_kind:     global_buffer
      - .address_space:  global
        .offset:         8
        .size:           8
        .value_kind:     global_buffer
      - .offset:         16
        .size:           4
        .value_kind:     by_value
      - .offset:         24
        .size:           8
        .value_kind:     by_value
    .group_segment_fixed_size: 0
    .kernarg_segment_align: 8
    .kernarg_segment_size: 32
    .language:       OpenCL C
    .language_version:
      - 2
      - 0
    .max_flat_workgroup_size: 1024
    .name:           _Z24warp_load_guarded_kernelILj1024ELj4ELj1ELN7rocprim17ROCPRIM_304000_NS16warp_load_methodE0EdEvPT3_S4_iS3_
    .private_segment_fixed_size: 0
    .sgpr_count:     17
    .sgpr_spill_count: 0
    .symbol:         _Z24warp_load_guarded_kernelILj1024ELj4ELj1ELN7rocprim17ROCPRIM_304000_NS16warp_load_methodE0EdEvPT3_S4_iS3_.kd
    .uniform_work_group_size: 1
    .uses_dynamic_stack: false
    .vgpr_count:     14
    .vgpr_spill_count: 0
    .wavefront_size: 64
  - .agpr_count:     0
    .args:
      - .address_space:  global
        .offset:         0
        .size:           8
        .value_kind:     global_buffer
      - .address_space:  global
        .offset:         8
        .size:           8
        .value_kind:     global_buffer
      - .offset:         16
        .size:           4
        .value_kind:     by_value
      - .offset:         20
        .size:           4
        .value_kind:     by_value
    .group_segment_fixed_size: 16384
    .kernarg_segment_align: 8
    .kernarg_segment_size: 24
    .language:       OpenCL C
    .language_version:
      - 2
      - 0
    .max_flat_workgroup_size: 1024
    .name:           _Z24warp_load_guarded_kernelILj1024ELj4ELj1ELN7rocprim17ROCPRIM_304000_NS16warp_load_methodE3EfEvPT3_S4_iS3_
    .private_segment_fixed_size: 0
    .sgpr_count:     14
    .sgpr_spill_count: 0
    .symbol:         _Z24warp_load_guarded_kernelILj1024ELj4ELj1ELN7rocprim17ROCPRIM_304000_NS16warp_load_methodE3EfEvPT3_S4_iS3_.kd
    .uniform_work_group_size: 1
    .uses_dynamic_stack: false
    .vgpr_count:     10
    .vgpr_spill_count: 0
    .wavefront_size: 64
  - .agpr_count:     0
    .args:
      - .address_space:  global
        .offset:         0
        .size:           8
        .value_kind:     global_buffer
      - .address_space:  global
        .offset:         8
        .size:           8
        .value_kind:     global_buffer
      - .offset:         16
        .size:           4
        .value_kind:     by_value
      - .offset:         20
        .size:           4
        .value_kind:     by_value
    .group_segment_fixed_size: 0
    .kernarg_segment_align: 8
    .kernarg_segment_size: 24
    .language:       OpenCL C
    .language_version:
      - 2
      - 0
    .max_flat_workgroup_size: 1024
    .name:           _Z24warp_load_guarded_kernelILj1024ELj4ELj1ELN7rocprim17ROCPRIM_304000_NS16warp_load_methodE2EfEvPT3_S4_iS3_
    .private_segment_fixed_size: 0
    .sgpr_count:     14
    .sgpr_spill_count: 0
    .symbol:         _Z24warp_load_guarded_kernelILj1024ELj4ELj1ELN7rocprim17ROCPRIM_304000_NS16warp_load_methodE2EfEvPT3_S4_iS3_.kd
    .uniform_work_group_size: 1
    .uses_dynamic_stack: false
    .vgpr_count:     8
    .vgpr_spill_count: 0
    .wavefront_size: 64
  - .agpr_count:     0
    .args:
      - .address_space:  global
        .offset:         0
        .size:           8
        .value_kind:     global_buffer
      - .address_space:  global
        .offset:         8
        .size:           8
        .value_kind:     global_buffer
      - .offset:         16
        .size:           4
        .value_kind:     by_value
      - .offset:         20
        .size:           4
        .value_kind:     by_value
    .group_segment_fixed_size: 0
    .kernarg_segment_align: 8
    .kernarg_segment_size: 24
    .language:       OpenCL C
    .language_version:
      - 2
      - 0
    .max_flat_workgroup_size: 1024
    .name:           _Z24warp_load_guarded_kernelILj1024ELj4ELj1ELN7rocprim17ROCPRIM_304000_NS16warp_load_methodE1EfEvPT3_S4_iS3_
    .private_segment_fixed_size: 0
    .sgpr_count:     14
    .sgpr_spill_count: 0
    .symbol:         _Z24warp_load_guarded_kernelILj1024ELj4ELj1ELN7rocprim17ROCPRIM_304000_NS16warp_load_methodE1EfEvPT3_S4_iS3_.kd
    .uniform_work_group_size: 1
    .uses_dynamic_stack: false
    .vgpr_count:     8
    .vgpr_spill_count: 0
    .wavefront_size: 64
  - .agpr_count:     0
    .args:
      - .address_space:  global
        .offset:         0
        .size:           8
        .value_kind:     global_buffer
      - .address_space:  global
        .offset:         8
        .size:           8
        .value_kind:     global_buffer
      - .offset:         16
        .size:           4
        .value_kind:     by_value
      - .offset:         20
        .size:           4
        .value_kind:     by_value
    .group_segment_fixed_size: 0
    .kernarg_segment_align: 8
    .kernarg_segment_size: 24
    .language:       OpenCL C
    .language_version:
      - 2
      - 0
    .max_flat_workgroup_size: 1024
    .name:           _Z24warp_load_guarded_kernelILj1024ELj4ELj1ELN7rocprim17ROCPRIM_304000_NS16warp_load_methodE0EfEvPT3_S4_iS3_
    .private_segment_fixed_size: 0
    .sgpr_count:     14
    .sgpr_spill_count: 0
    .symbol:         _Z24warp_load_guarded_kernelILj1024ELj4ELj1ELN7rocprim17ROCPRIM_304000_NS16warp_load_methodE0EfEvPT3_S4_iS3_.kd
    .uniform_work_group_size: 1
    .uses_dynamic_stack: false
    .vgpr_count:     8
    .vgpr_spill_count: 0
    .wavefront_size: 64
  - .agpr_count:     0
    .args:
      - .address_space:  global
        .offset:         0
        .size:           8
        .value_kind:     global_buffer
      - .address_space:  global
        .offset:         8
        .size:           8
        .value_kind:     global_buffer
      - .offset:         16
        .size:           4
        .value_kind:     by_value
      - .offset:         20
        .size:           1
        .value_kind:     by_value
    .group_segment_fixed_size: 4096
    .kernarg_segment_align: 8
    .kernarg_segment_size: 24
    .language:       OpenCL C
    .language_version:
      - 2
      - 0
    .max_flat_workgroup_size: 1024
    .name:           _Z24warp_load_guarded_kernelILj1024ELj4ELj1ELN7rocprim17ROCPRIM_304000_NS16warp_load_methodE3EhEvPT3_S4_iS3_
    .private_segment_fixed_size: 0
    .sgpr_count:     12
    .sgpr_spill_count: 0
    .symbol:         _Z24warp_load_guarded_kernelILj1024ELj4ELj1ELN7rocprim17ROCPRIM_304000_NS16warp_load_methodE3EhEvPT3_S4_iS3_.kd
    .uniform_work_group_size: 1
    .uses_dynamic_stack: false
    .vgpr_count:     6
    .vgpr_spill_count: 0
    .wavefront_size: 64
  - .agpr_count:     0
    .args:
      - .address_space:  global
        .offset:         0
        .size:           8
        .value_kind:     global_buffer
      - .address_space:  global
        .offset:         8
        .size:           8
        .value_kind:     global_buffer
      - .offset:         16
        .size:           4
        .value_kind:     by_value
      - .offset:         20
        .size:           1
        .value_kind:     by_value
    .group_segment_fixed_size: 0
    .kernarg_segment_align: 8
    .kernarg_segment_size: 24
    .language:       OpenCL C
    .language_version:
      - 2
      - 0
    .max_flat_workgroup_size: 1024
    .name:           _Z24warp_load_guarded_kernelILj1024ELj4ELj1ELN7rocprim17ROCPRIM_304000_NS16warp_load_methodE2EhEvPT3_S4_iS3_
    .private_segment_fixed_size: 0
    .sgpr_count:     12
    .sgpr_spill_count: 0
    .symbol:         _Z24warp_load_guarded_kernelILj1024ELj4ELj1ELN7rocprim17ROCPRIM_304000_NS16warp_load_methodE2EhEvPT3_S4_iS3_.kd
    .uniform_work_group_size: 1
    .uses_dynamic_stack: false
    .vgpr_count:     5
    .vgpr_spill_count: 0
    .wavefront_size: 64
  - .agpr_count:     0
    .args:
      - .address_space:  global
        .offset:         0
        .size:           8
        .value_kind:     global_buffer
      - .address_space:  global
        .offset:         8
        .size:           8
        .value_kind:     global_buffer
      - .offset:         16
        .size:           4
        .value_kind:     by_value
      - .offset:         20
        .size:           1
        .value_kind:     by_value
    .group_segment_fixed_size: 0
    .kernarg_segment_align: 8
    .kernarg_segment_size: 24
    .language:       OpenCL C
    .language_version:
      - 2
      - 0
    .max_flat_workgroup_size: 1024
    .name:           _Z24warp_load_guarded_kernelILj1024ELj4ELj1ELN7rocprim17ROCPRIM_304000_NS16warp_load_methodE1EhEvPT3_S4_iS3_
    .private_segment_fixed_size: 0
    .sgpr_count:     12
    .sgpr_spill_count: 0
    .symbol:         _Z24warp_load_guarded_kernelILj1024ELj4ELj1ELN7rocprim17ROCPRIM_304000_NS16warp_load_methodE1EhEvPT3_S4_iS3_.kd
    .uniform_work_group_size: 1
    .uses_dynamic_stack: false
    .vgpr_count:     5
    .vgpr_spill_count: 0
    .wavefront_size: 64
  - .agpr_count:     0
    .args:
      - .address_space:  global
        .offset:         0
        .size:           8
        .value_kind:     global_buffer
      - .address_space:  global
        .offset:         8
        .size:           8
        .value_kind:     global_buffer
      - .offset:         16
        .size:           4
        .value_kind:     by_value
      - .offset:         20
        .size:           1
        .value_kind:     by_value
    .group_segment_fixed_size: 0
    .kernarg_segment_align: 8
    .kernarg_segment_size: 24
    .language:       OpenCL C
    .language_version:
      - 2
      - 0
    .max_flat_workgroup_size: 1024
    .name:           _Z24warp_load_guarded_kernelILj1024ELj4ELj1ELN7rocprim17ROCPRIM_304000_NS16warp_load_methodE0EhEvPT3_S4_iS3_
    .private_segment_fixed_size: 0
    .sgpr_count:     12
    .sgpr_spill_count: 0
    .symbol:         _Z24warp_load_guarded_kernelILj1024ELj4ELj1ELN7rocprim17ROCPRIM_304000_NS16warp_load_methodE0EhEvPT3_S4_iS3_.kd
    .uniform_work_group_size: 1
    .uses_dynamic_stack: false
    .vgpr_count:     5
    .vgpr_spill_count: 0
    .wavefront_size: 64
  - .agpr_count:     0
    .args:
      - .address_space:  global
        .offset:         0
        .size:           8
        .value_kind:     global_buffer
      - .address_space:  global
        .offset:         8
        .size:           8
        .value_kind:     global_buffer
      - .offset:         16
        .size:           4
        .value_kind:     by_value
      - .offset:         20
        .size:           1
        .value_kind:     by_value
    .group_segment_fixed_size: 4096
    .kernarg_segment_align: 8
    .kernarg_segment_size: 24
    .language:       OpenCL C
    .language_version:
      - 2
      - 0
    .max_flat_workgroup_size: 1024
    .name:           _Z24warp_load_guarded_kernelILj1024ELj4ELj1ELN7rocprim17ROCPRIM_304000_NS16warp_load_methodE3EaEvPT3_S4_iS3_
    .private_segment_fixed_size: 0
    .sgpr_count:     12
    .sgpr_spill_count: 0
    .symbol:         _Z24warp_load_guarded_kernelILj1024ELj4ELj1ELN7rocprim17ROCPRIM_304000_NS16warp_load_methodE3EaEvPT3_S4_iS3_.kd
    .uniform_work_group_size: 1
    .uses_dynamic_stack: false
    .vgpr_count:     6
    .vgpr_spill_count: 0
    .wavefront_size: 64
  - .agpr_count:     0
    .args:
      - .address_space:  global
        .offset:         0
        .size:           8
        .value_kind:     global_buffer
      - .address_space:  global
        .offset:         8
        .size:           8
        .value_kind:     global_buffer
      - .offset:         16
        .size:           4
        .value_kind:     by_value
      - .offset:         20
        .size:           1
        .value_kind:     by_value
    .group_segment_fixed_size: 0
    .kernarg_segment_align: 8
    .kernarg_segment_size: 24
    .language:       OpenCL C
    .language_version:
      - 2
      - 0
    .max_flat_workgroup_size: 1024
    .name:           _Z24warp_load_guarded_kernelILj1024ELj4ELj1ELN7rocprim17ROCPRIM_304000_NS16warp_load_methodE2EaEvPT3_S4_iS3_
    .private_segment_fixed_size: 0
    .sgpr_count:     12
    .sgpr_spill_count: 0
    .symbol:         _Z24warp_load_guarded_kernelILj1024ELj4ELj1ELN7rocprim17ROCPRIM_304000_NS16warp_load_methodE2EaEvPT3_S4_iS3_.kd
    .uniform_work_group_size: 1
    .uses_dynamic_stack: false
    .vgpr_count:     5
    .vgpr_spill_count: 0
    .wavefront_size: 64
  - .agpr_count:     0
    .args:
      - .address_space:  global
        .offset:         0
        .size:           8
        .value_kind:     global_buffer
      - .address_space:  global
        .offset:         8
        .size:           8
        .value_kind:     global_buffer
      - .offset:         16
        .size:           4
        .value_kind:     by_value
      - .offset:         20
        .size:           1
        .value_kind:     by_value
    .group_segment_fixed_size: 0
    .kernarg_segment_align: 8
    .kernarg_segment_size: 24
    .language:       OpenCL C
    .language_version:
      - 2
      - 0
    .max_flat_workgroup_size: 1024
    .name:           _Z24warp_load_guarded_kernelILj1024ELj4ELj1ELN7rocprim17ROCPRIM_304000_NS16warp_load_methodE1EaEvPT3_S4_iS3_
    .private_segment_fixed_size: 0
    .sgpr_count:     12
    .sgpr_spill_count: 0
    .symbol:         _Z24warp_load_guarded_kernelILj1024ELj4ELj1ELN7rocprim17ROCPRIM_304000_NS16warp_load_methodE1EaEvPT3_S4_iS3_.kd
    .uniform_work_group_size: 1
    .uses_dynamic_stack: false
    .vgpr_count:     5
    .vgpr_spill_count: 0
    .wavefront_size: 64
  - .agpr_count:     0
    .args:
      - .address_space:  global
        .offset:         0
        .size:           8
        .value_kind:     global_buffer
      - .address_space:  global
        .offset:         8
        .size:           8
        .value_kind:     global_buffer
      - .offset:         16
        .size:           4
        .value_kind:     by_value
      - .offset:         20
        .size:           1
        .value_kind:     by_value
    .group_segment_fixed_size: 0
    .kernarg_segment_align: 8
    .kernarg_segment_size: 24
    .language:       OpenCL C
    .language_version:
      - 2
      - 0
    .max_flat_workgroup_size: 1024
    .name:           _Z24warp_load_guarded_kernelILj1024ELj4ELj1ELN7rocprim17ROCPRIM_304000_NS16warp_load_methodE0EaEvPT3_S4_iS3_
    .private_segment_fixed_size: 0
    .sgpr_count:     12
    .sgpr_spill_count: 0
    .symbol:         _Z24warp_load_guarded_kernelILj1024ELj4ELj1ELN7rocprim17ROCPRIM_304000_NS16warp_load_methodE0EaEvPT3_S4_iS3_.kd
    .uniform_work_group_size: 1
    .uses_dynamic_stack: false
    .vgpr_count:     5
    .vgpr_spill_count: 0
    .wavefront_size: 64
  - .agpr_count:     0
    .args:
      - .address_space:  global
        .offset:         0
        .size:           8
        .value_kind:     global_buffer
      - .address_space:  global
        .offset:         8
        .size:           8
        .value_kind:     global_buffer
      - .offset:         16
        .size:           4
        .value_kind:     by_value
      - .offset:         24
        .size:           8
        .value_kind:     by_value
    .group_segment_fixed_size: 32768
    .kernarg_segment_align: 8
    .kernarg_segment_size: 32
    .language:       OpenCL C
    .language_version:
      - 2
      - 0
    .max_flat_workgroup_size: 1024
    .name:           _Z24warp_load_guarded_kernelILj1024ELj4ELj32ELN7rocprim17ROCPRIM_304000_NS16warp_load_methodE3E15HIP_vector_typeIfLj2EEEvPT3_S6_iS5_
    .private_segment_fixed_size: 0
    .sgpr_count:     13
    .sgpr_spill_count: 0
    .symbol:         _Z24warp_load_guarded_kernelILj1024ELj4ELj32ELN7rocprim17ROCPRIM_304000_NS16warp_load_methodE3E15HIP_vector_typeIfLj2EEEvPT3_S6_iS5_.kd
    .uniform_work_group_size: 1
    .uses_dynamic_stack: false
    .vgpr_count:     14
    .vgpr_spill_count: 0
    .wavefront_size: 64
  - .agpr_count:     0
    .args:
      - .address_space:  global
        .offset:         0
        .size:           8
        .value_kind:     global_buffer
      - .address_space:  global
        .offset:         8
        .size:           8
        .value_kind:     global_buffer
      - .offset:         16
        .size:           4
        .value_kind:     by_value
      - .offset:         24
        .size:           8
        .value_kind:     by_value
    .group_segment_fixed_size: 0
    .kernarg_segment_align: 8
    .kernarg_segment_size: 32
    .language:       OpenCL C
    .language_version:
      - 2
      - 0
    .max_flat_workgroup_size: 1024
    .name:           _Z24warp_load_guarded_kernelILj1024ELj4ELj32ELN7rocprim17ROCPRIM_304000_NS16warp_load_methodE2E15HIP_vector_typeIfLj2EEEvPT3_S6_iS5_
    .private_segment_fixed_size: 0
    .sgpr_count:     13
    .sgpr_spill_count: 0
    .symbol:         _Z24warp_load_guarded_kernelILj1024ELj4ELj32ELN7rocprim17ROCPRIM_304000_NS16warp_load_methodE2E15HIP_vector_typeIfLj2EEEvPT3_S6_iS5_.kd
    .uniform_work_group_size: 1
    .uses_dynamic_stack: false
    .vgpr_count:     12
    .vgpr_spill_count: 0
    .wavefront_size: 64
  - .agpr_count:     0
    .args:
      - .address_space:  global
        .offset:         0
        .size:           8
        .value_kind:     global_buffer
      - .address_space:  global
        .offset:         8
        .size:           8
        .value_kind:     global_buffer
      - .offset:         16
        .size:           4
        .value_kind:     by_value
      - .offset:         24
        .size:           8
        .value_kind:     by_value
    .group_segment_fixed_size: 0
    .kernarg_segment_align: 8
    .kernarg_segment_size: 32
    .language:       OpenCL C
    .language_version:
      - 2
      - 0
    .max_flat_workgroup_size: 1024
    .name:           _Z24warp_load_guarded_kernelILj1024ELj4ELj32ELN7rocprim17ROCPRIM_304000_NS16warp_load_methodE1E15HIP_vector_typeIfLj2EEEvPT3_S6_iS5_
    .private_segment_fixed_size: 0
    .sgpr_count:     13
    .sgpr_spill_count: 0
    .symbol:         _Z24warp_load_guarded_kernelILj1024ELj4ELj32ELN7rocprim17ROCPRIM_304000_NS16warp_load_methodE1E15HIP_vector_typeIfLj2EEEvPT3_S6_iS5_.kd
    .uniform_work_group_size: 1
    .uses_dynamic_stack: false
    .vgpr_count:     12
    .vgpr_spill_count: 0
    .wavefront_size: 64
  - .agpr_count:     0
    .args:
      - .address_space:  global
        .offset:         0
        .size:           8
        .value_kind:     global_buffer
      - .address_space:  global
        .offset:         8
        .size:           8
        .value_kind:     global_buffer
      - .offset:         16
        .size:           4
        .value_kind:     by_value
      - .offset:         24
        .size:           8
        .value_kind:     by_value
    .group_segment_fixed_size: 0
    .kernarg_segment_align: 8
    .kernarg_segment_size: 32
    .language:       OpenCL C
    .language_version:
      - 2
      - 0
    .max_flat_workgroup_size: 1024
    .name:           _Z24warp_load_guarded_kernelILj1024ELj4ELj32ELN7rocprim17ROCPRIM_304000_NS16warp_load_methodE0E15HIP_vector_typeIfLj2EEEvPT3_S6_iS5_
    .private_segment_fixed_size: 0
    .sgpr_count:     13
    .sgpr_spill_count: 0
    .symbol:         _Z24warp_load_guarded_kernelILj1024ELj4ELj32ELN7rocprim17ROCPRIM_304000_NS16warp_load_methodE0E15HIP_vector_typeIfLj2EEEvPT3_S6_iS5_.kd
    .uniform_work_group_size: 1
    .uses_dynamic_stack: false
    .vgpr_count:     12
    .vgpr_spill_count: 0
    .wavefront_size: 64
  - .agpr_count:     0
    .args:
      - .address_space:  global
        .offset:         0
        .size:           8
        .value_kind:     global_buffer
      - .address_space:  global
        .offset:         8
        .size:           8
        .value_kind:     global_buffer
      - .offset:         16
        .size:           4
        .value_kind:     by_value
      - .offset:         20
        .size:           4
        .value_kind:     by_value
    .group_segment_fixed_size: 16384
    .kernarg_segment_align: 8
    .kernarg_segment_size: 24
    .language:       OpenCL C
    .language_version:
      - 2
      - 0
    .max_flat_workgroup_size: 1024
    .name:           _Z24warp_load_guarded_kernelILj1024ELj4ELj64ELN7rocprim17ROCPRIM_304000_NS16warp_load_methodE3EiEvPT3_S4_iS3_
    .private_segment_fixed_size: 0
    .sgpr_count:     14
    .sgpr_spill_count: 0
    .symbol:         _Z24warp_load_guarded_kernelILj1024ELj4ELj64ELN7rocprim17ROCPRIM_304000_NS16warp_load_methodE3EiEvPT3_S4_iS3_.kd
    .uniform_work_group_size: 1
    .uses_dynamic_stack: false
    .vgpr_count:     12
    .vgpr_spill_count: 0
    .wavefront_size: 64
  - .agpr_count:     0
    .args:
      - .address_space:  global
        .offset:         0
        .size:           8
        .value_kind:     global_buffer
      - .address_space:  global
        .offset:         8
        .size:           8
        .value_kind:     global_buffer
      - .offset:         16
        .size:           4
        .value_kind:     by_value
      - .offset:         20
        .size:           4
        .value_kind:     by_value
    .group_segment_fixed_size: 0
    .kernarg_segment_align: 8
    .kernarg_segment_size: 24
    .language:       OpenCL C
    .language_version:
      - 2
      - 0
    .max_flat_workgroup_size: 1024
    .name:           _Z24warp_load_guarded_kernelILj1024ELj4ELj64ELN7rocprim17ROCPRIM_304000_NS16warp_load_methodE2EiEvPT3_S4_iS3_
    .private_segment_fixed_size: 0
    .sgpr_count:     14
    .sgpr_spill_count: 0
    .symbol:         _Z24warp_load_guarded_kernelILj1024ELj4ELj64ELN7rocprim17ROCPRIM_304000_NS16warp_load_methodE2EiEvPT3_S4_iS3_.kd
    .uniform_work_group_size: 1
    .uses_dynamic_stack: false
    .vgpr_count:     9
    .vgpr_spill_count: 0
    .wavefront_size: 64
  - .agpr_count:     0
    .args:
      - .address_space:  global
        .offset:         0
        .size:           8
        .value_kind:     global_buffer
      - .address_space:  global
        .offset:         8
        .size:           8
        .value_kind:     global_buffer
      - .offset:         16
        .size:           4
        .value_kind:     by_value
      - .offset:         20
        .size:           4
        .value_kind:     by_value
    .group_segment_fixed_size: 0
    .kernarg_segment_align: 8
    .kernarg_segment_size: 24
    .language:       OpenCL C
    .language_version:
      - 2
      - 0
    .max_flat_workgroup_size: 1024
    .name:           _Z24warp_load_guarded_kernelILj1024ELj4ELj64ELN7rocprim17ROCPRIM_304000_NS16warp_load_methodE1EiEvPT3_S4_iS3_
    .private_segment_fixed_size: 0
    .sgpr_count:     14
    .sgpr_spill_count: 0
    .symbol:         _Z24warp_load_guarded_kernelILj1024ELj4ELj64ELN7rocprim17ROCPRIM_304000_NS16warp_load_methodE1EiEvPT3_S4_iS3_.kd
    .uniform_work_group_size: 1
    .uses_dynamic_stack: false
    .vgpr_count:     9
    .vgpr_spill_count: 0
    .wavefront_size: 64
  - .agpr_count:     0
    .args:
      - .address_space:  global
        .offset:         0
        .size:           8
        .value_kind:     global_buffer
      - .address_space:  global
        .offset:         8
        .size:           8
        .value_kind:     global_buffer
      - .offset:         16
        .size:           4
        .value_kind:     by_value
      - .offset:         20
        .size:           4
        .value_kind:     by_value
    .group_segment_fixed_size: 0
    .kernarg_segment_align: 8
    .kernarg_segment_size: 24
    .language:       OpenCL C
    .language_version:
      - 2
      - 0
    .max_flat_workgroup_size: 1024
    .name:           _Z24warp_load_guarded_kernelILj1024ELj4ELj64ELN7rocprim17ROCPRIM_304000_NS16warp_load_methodE0EiEvPT3_S4_iS3_
    .private_segment_fixed_size: 0
    .sgpr_count:     14
    .sgpr_spill_count: 0
    .symbol:         _Z24warp_load_guarded_kernelILj1024ELj4ELj64ELN7rocprim17ROCPRIM_304000_NS16warp_load_methodE0EiEvPT3_S4_iS3_.kd
    .uniform_work_group_size: 1
    .uses_dynamic_stack: false
    .vgpr_count:     9
    .vgpr_spill_count: 0
    .wavefront_size: 64
  - .agpr_count:     0
    .args:
      - .address_space:  global
        .offset:         0
        .size:           8
        .value_kind:     global_buffer
      - .address_space:  global
        .offset:         8
        .size:           8
        .value_kind:     global_buffer
      - .offset:         16
        .size:           4
        .value_kind:     by_value
      - .offset:         20
        .size:           4
        .value_kind:     by_value
    .group_segment_fixed_size: 20480
    .kernarg_segment_align: 8
    .kernarg_segment_size: 24
    .language:       OpenCL C
    .language_version:
      - 2
      - 0
    .max_flat_workgroup_size: 1024
    .name:           _Z24warp_load_guarded_kernelILj1024ELj5ELj32ELN7rocprim17ROCPRIM_304000_NS16warp_load_methodE3EiEvPT3_S4_iS3_
    .private_segment_fixed_size: 0
    .sgpr_count:     16
    .sgpr_spill_count: 0
    .symbol:         _Z24warp_load_guarded_kernelILj1024ELj5ELj32ELN7rocprim17ROCPRIM_304000_NS16warp_load_methodE3EiEvPT3_S4_iS3_.kd
    .uniform_work_group_size: 1
    .uses_dynamic_stack: false
    .vgpr_count:     11
    .vgpr_spill_count: 0
    .wavefront_size: 64
  - .agpr_count:     0
    .args:
      - .address_space:  global
        .offset:         0
        .size:           8
        .value_kind:     global_buffer
      - .address_space:  global
        .offset:         8
        .size:           8
        .value_kind:     global_buffer
      - .offset:         16
        .size:           4
        .value_kind:     by_value
      - .offset:         20
        .size:           4
        .value_kind:     by_value
    .group_segment_fixed_size: 0
    .kernarg_segment_align: 8
    .kernarg_segment_size: 24
    .language:       OpenCL C
    .language_version:
      - 2
      - 0
    .max_flat_workgroup_size: 1024
    .name:           _Z24warp_load_guarded_kernelILj1024ELj5ELj32ELN7rocprim17ROCPRIM_304000_NS16warp_load_methodE2EiEvPT3_S4_iS3_
    .private_segment_fixed_size: 0
    .sgpr_count:     16
    .sgpr_spill_count: 0
    .symbol:         _Z24warp_load_guarded_kernelILj1024ELj5ELj32ELN7rocprim17ROCPRIM_304000_NS16warp_load_methodE2EiEvPT3_S4_iS3_.kd
    .uniform_work_group_size: 1
    .uses_dynamic_stack: false
    .vgpr_count:     10
    .vgpr_spill_count: 0
    .wavefront_size: 64
  - .agpr_count:     0
    .args:
      - .address_space:  global
        .offset:         0
        .size:           8
        .value_kind:     global_buffer
      - .address_space:  global
        .offset:         8
        .size:           8
        .value_kind:     global_buffer
      - .offset:         16
        .size:           4
        .value_kind:     by_value
      - .offset:         20
        .size:           4
        .value_kind:     by_value
    .group_segment_fixed_size: 0
    .kernarg_segment_align: 8
    .kernarg_segment_size: 24
    .language:       OpenCL C
    .language_version:
      - 2
      - 0
    .max_flat_workgroup_size: 1024
    .name:           _Z24warp_load_guarded_kernelILj1024ELj5ELj32ELN7rocprim17ROCPRIM_304000_NS16warp_load_methodE1EiEvPT3_S4_iS3_
    .private_segment_fixed_size: 0
    .sgpr_count:     16
    .sgpr_spill_count: 0
    .symbol:         _Z24warp_load_guarded_kernelILj1024ELj5ELj32ELN7rocprim17ROCPRIM_304000_NS16warp_load_methodE1EiEvPT3_S4_iS3_.kd
    .uniform_work_group_size: 1
    .uses_dynamic_stack: false
    .vgpr_count:     10
    .vgpr_spill_count: 0
    .wavefront_size: 64
  - .agpr_count:     0
    .args:
      - .address_space:  global
        .offset:         0
        .size:           8
        .value_kind:     global_buffer
      - .address_space:  global
        .offset:         8
        .size:           8
        .value_kind:     global_buffer
      - .offset:         16
        .size:           4
        .value_kind:     by_value
      - .offset:         20
        .size:           4
        .value_kind:     by_value
    .group_segment_fixed_size: 0
    .kernarg_segment_align: 8
    .kernarg_segment_size: 24
    .language:       OpenCL C
    .language_version:
      - 2
      - 0
    .max_flat_workgroup_size: 1024
    .name:           _Z24warp_load_guarded_kernelILj1024ELj5ELj32ELN7rocprim17ROCPRIM_304000_NS16warp_load_methodE0EiEvPT3_S4_iS3_
    .private_segment_fixed_size: 0
    .sgpr_count:     16
    .sgpr_spill_count: 0
    .symbol:         _Z24warp_load_guarded_kernelILj1024ELj5ELj32ELN7rocprim17ROCPRIM_304000_NS16warp_load_methodE0EiEvPT3_S4_iS3_.kd
    .uniform_work_group_size: 1
    .uses_dynamic_stack: false
    .vgpr_count:     10
    .vgpr_spill_count: 0
    .wavefront_size: 64
  - .agpr_count:     0
    .args:
      - .address_space:  global
        .offset:         0
        .size:           8
        .value_kind:     global_buffer
      - .address_space:  global
        .offset:         8
        .size:           8
        .value_kind:     global_buffer
      - .offset:         16
        .size:           4
        .value_kind:     by_value
      - .offset:         20
        .size:           4
        .value_kind:     by_value
    .group_segment_fixed_size: 16384
    .kernarg_segment_align: 8
    .kernarg_segment_size: 24
    .language:       OpenCL C
    .language_version:
      - 2
      - 0
    .max_flat_workgroup_size: 1024
    .name:           _Z24warp_load_guarded_kernelILj1024ELj4ELj32ELN7rocprim17ROCPRIM_304000_NS16warp_load_methodE3EiEvPT3_S4_iS3_
    .private_segment_fixed_size: 0
    .sgpr_count:     14
    .sgpr_spill_count: 0
    .symbol:         _Z24warp_load_guarded_kernelILj1024ELj4ELj32ELN7rocprim17ROCPRIM_304000_NS16warp_load_methodE3EiEvPT3_S4_iS3_.kd
    .uniform_work_group_size: 1
    .uses_dynamic_stack: false
    .vgpr_count:     11
    .vgpr_spill_count: 0
    .wavefront_size: 64
  - .agpr_count:     0
    .args:
      - .address_space:  global
        .offset:         0
        .size:           8
        .value_kind:     global_buffer
      - .address_space:  global
        .offset:         8
        .size:           8
        .value_kind:     global_buffer
      - .offset:         16
        .size:           4
        .value_kind:     by_value
      - .offset:         20
        .size:           4
        .value_kind:     by_value
    .group_segment_fixed_size: 0
    .kernarg_segment_align: 8
    .kernarg_segment_size: 24
    .language:       OpenCL C
    .language_version:
      - 2
      - 0
    .max_flat_workgroup_size: 1024
    .name:           _Z24warp_load_guarded_kernelILj1024ELj4ELj32ELN7rocprim17ROCPRIM_304000_NS16warp_load_methodE2EiEvPT3_S4_iS3_
    .private_segment_fixed_size: 0
    .sgpr_count:     14
    .sgpr_spill_count: 0
    .symbol:         _Z24warp_load_guarded_kernelILj1024ELj4ELj32ELN7rocprim17ROCPRIM_304000_NS16warp_load_methodE2EiEvPT3_S4_iS3_.kd
    .uniform_work_group_size: 1
    .uses_dynamic_stack: false
    .vgpr_count:     9
    .vgpr_spill_count: 0
    .wavefront_size: 64
  - .agpr_count:     0
    .args:
      - .address_space:  global
        .offset:         0
        .size:           8
        .value_kind:     global_buffer
      - .address_space:  global
        .offset:         8
        .size:           8
        .value_kind:     global_buffer
      - .offset:         16
        .size:           4
        .value_kind:     by_value
      - .offset:         20
        .size:           4
        .value_kind:     by_value
    .group_segment_fixed_size: 0
    .kernarg_segment_align: 8
    .kernarg_segment_size: 24
    .language:       OpenCL C
    .language_version:
      - 2
      - 0
    .max_flat_workgroup_size: 1024
    .name:           _Z24warp_load_guarded_kernelILj1024ELj4ELj32ELN7rocprim17ROCPRIM_304000_NS16warp_load_methodE1EiEvPT3_S4_iS3_
    .private_segment_fixed_size: 0
    .sgpr_count:     14
    .sgpr_spill_count: 0
    .symbol:         _Z24warp_load_guarded_kernelILj1024ELj4ELj32ELN7rocprim17ROCPRIM_304000_NS16warp_load_methodE1EiEvPT3_S4_iS3_.kd
    .uniform_work_group_size: 1
    .uses_dynamic_stack: false
    .vgpr_count:     9
    .vgpr_spill_count: 0
    .wavefront_size: 64
  - .agpr_count:     0
    .args:
      - .address_space:  global
        .offset:         0
        .size:           8
        .value_kind:     global_buffer
      - .address_space:  global
        .offset:         8
        .size:           8
        .value_kind:     global_buffer
      - .offset:         16
        .size:           4
        .value_kind:     by_value
      - .offset:         20
        .size:           4
        .value_kind:     by_value
    .group_segment_fixed_size: 0
    .kernarg_segment_align: 8
    .kernarg_segment_size: 24
    .language:       OpenCL C
    .language_version:
      - 2
      - 0
    .max_flat_workgroup_size: 1024
    .name:           _Z24warp_load_guarded_kernelILj1024ELj4ELj32ELN7rocprim17ROCPRIM_304000_NS16warp_load_methodE0EiEvPT3_S4_iS3_
    .private_segment_fixed_size: 0
    .sgpr_count:     14
    .sgpr_spill_count: 0
    .symbol:         _Z24warp_load_guarded_kernelILj1024ELj4ELj32ELN7rocprim17ROCPRIM_304000_NS16warp_load_methodE0EiEvPT3_S4_iS3_.kd
    .uniform_work_group_size: 1
    .uses_dynamic_stack: false
    .vgpr_count:     9
    .vgpr_spill_count: 0
    .wavefront_size: 64
  - .agpr_count:     0
    .args:
      - .address_space:  global
        .offset:         0
        .size:           8
        .value_kind:     global_buffer
      - .address_space:  global
        .offset:         8
        .size:           8
        .value_kind:     global_buffer
      - .offset:         16
        .size:           4
        .value_kind:     by_value
      - .offset:         20
        .size:           4
        .value_kind:     by_value
    .group_segment_fixed_size: 16384
    .kernarg_segment_align: 8
    .kernarg_segment_size: 24
    .language:       OpenCL C
    .language_version:
      - 2
      - 0
    .max_flat_workgroup_size: 1024
    .name:           _Z24warp_load_guarded_kernelILj1024ELj4ELj8ELN7rocprim17ROCPRIM_304000_NS16warp_load_methodE3EiEvPT3_S4_iS3_
    .private_segment_fixed_size: 0
    .sgpr_count:     14
    .sgpr_spill_count: 0
    .symbol:         _Z24warp_load_guarded_kernelILj1024ELj4ELj8ELN7rocprim17ROCPRIM_304000_NS16warp_load_methodE3EiEvPT3_S4_iS3_.kd
    .uniform_work_group_size: 1
    .uses_dynamic_stack: false
    .vgpr_count:     11
    .vgpr_spill_count: 0
    .wavefront_size: 64
  - .agpr_count:     0
    .args:
      - .address_space:  global
        .offset:         0
        .size:           8
        .value_kind:     global_buffer
      - .address_space:  global
        .offset:         8
        .size:           8
        .value_kind:     global_buffer
      - .offset:         16
        .size:           4
        .value_kind:     by_value
      - .offset:         20
        .size:           4
        .value_kind:     by_value
    .group_segment_fixed_size: 0
    .kernarg_segment_align: 8
    .kernarg_segment_size: 24
    .language:       OpenCL C
    .language_version:
      - 2
      - 0
    .max_flat_workgroup_size: 1024
    .name:           _Z24warp_load_guarded_kernelILj1024ELj4ELj8ELN7rocprim17ROCPRIM_304000_NS16warp_load_methodE2EiEvPT3_S4_iS3_
    .private_segment_fixed_size: 0
    .sgpr_count:     14
    .sgpr_spill_count: 0
    .symbol:         _Z24warp_load_guarded_kernelILj1024ELj4ELj8ELN7rocprim17ROCPRIM_304000_NS16warp_load_methodE2EiEvPT3_S4_iS3_.kd
    .uniform_work_group_size: 1
    .uses_dynamic_stack: false
    .vgpr_count:     9
    .vgpr_spill_count: 0
    .wavefront_size: 64
  - .agpr_count:     0
    .args:
      - .address_space:  global
        .offset:         0
        .size:           8
        .value_kind:     global_buffer
      - .address_space:  global
        .offset:         8
        .size:           8
        .value_kind:     global_buffer
      - .offset:         16
        .size:           4
        .value_kind:     by_value
      - .offset:         20
        .size:           4
        .value_kind:     by_value
    .group_segment_fixed_size: 0
    .kernarg_segment_align: 8
    .kernarg_segment_size: 24
    .language:       OpenCL C
    .language_version:
      - 2
      - 0
    .max_flat_workgroup_size: 1024
    .name:           _Z24warp_load_guarded_kernelILj1024ELj4ELj8ELN7rocprim17ROCPRIM_304000_NS16warp_load_methodE1EiEvPT3_S4_iS3_
    .private_segment_fixed_size: 0
    .sgpr_count:     14
    .sgpr_spill_count: 0
    .symbol:         _Z24warp_load_guarded_kernelILj1024ELj4ELj8ELN7rocprim17ROCPRIM_304000_NS16warp_load_methodE1EiEvPT3_S4_iS3_.kd
    .uniform_work_group_size: 1
    .uses_dynamic_stack: false
    .vgpr_count:     9
    .vgpr_spill_count: 0
    .wavefront_size: 64
  - .agpr_count:     0
    .args:
      - .address_space:  global
        .offset:         0
        .size:           8
        .value_kind:     global_buffer
      - .address_space:  global
        .offset:         8
        .size:           8
        .value_kind:     global_buffer
      - .offset:         16
        .size:           4
        .value_kind:     by_value
      - .offset:         20
        .size:           4
        .value_kind:     by_value
    .group_segment_fixed_size: 0
    .kernarg_segment_align: 8
    .kernarg_segment_size: 24
    .language:       OpenCL C
    .language_version:
      - 2
      - 0
    .max_flat_workgroup_size: 1024
    .name:           _Z24warp_load_guarded_kernelILj1024ELj4ELj8ELN7rocprim17ROCPRIM_304000_NS16warp_load_methodE0EiEvPT3_S4_iS3_
    .private_segment_fixed_size: 0
    .sgpr_count:     14
    .sgpr_spill_count: 0
    .symbol:         _Z24warp_load_guarded_kernelILj1024ELj4ELj8ELN7rocprim17ROCPRIM_304000_NS16warp_load_methodE0EiEvPT3_S4_iS3_.kd
    .uniform_work_group_size: 1
    .uses_dynamic_stack: false
    .vgpr_count:     9
    .vgpr_spill_count: 0
    .wavefront_size: 64
amdhsa.target:   amdgcn-amd-amdhsa--gfx90a
amdhsa.version:
  - 1
  - 2
...

	.end_amdgpu_metadata
